;; amdgpu-corpus repo=ROCm/rocFFT kind=compiled arch=gfx950 opt=O3
	.text
	.amdgcn_target "amdgcn-amd-amdhsa--gfx950"
	.amdhsa_code_object_version 6
	.protected	fft_rtc_fwd_len784_factors_2_2_2_2_7_7_wgs_56_tpt_56_halfLds_sp_ip_CI_unitstride_sbrr_R2C_dirReg ; -- Begin function fft_rtc_fwd_len784_factors_2_2_2_2_7_7_wgs_56_tpt_56_halfLds_sp_ip_CI_unitstride_sbrr_R2C_dirReg
	.globl	fft_rtc_fwd_len784_factors_2_2_2_2_7_7_wgs_56_tpt_56_halfLds_sp_ip_CI_unitstride_sbrr_R2C_dirReg
	.p2align	8
	.type	fft_rtc_fwd_len784_factors_2_2_2_2_7_7_wgs_56_tpt_56_halfLds_sp_ip_CI_unitstride_sbrr_R2C_dirReg,@function
fft_rtc_fwd_len784_factors_2_2_2_2_7_7_wgs_56_tpt_56_halfLds_sp_ip_CI_unitstride_sbrr_R2C_dirReg: ; @fft_rtc_fwd_len784_factors_2_2_2_2_7_7_wgs_56_tpt_56_halfLds_sp_ip_CI_unitstride_sbrr_R2C_dirReg
; %bb.0:
	s_load_dwordx2 s[8:9], s[0:1], 0x50
	s_load_dwordx4 s[4:7], s[0:1], 0x0
	s_load_dwordx2 s[10:11], s[0:1], 0x18
	v_mul_u32_u24_e32 v1, 0x493, v0
	v_add_u32_sdwa v6, s2, v1 dst_sel:DWORD dst_unused:UNUSED_PAD src0_sel:DWORD src1_sel:WORD_1
	v_mov_b32_e32 v4, 0
	s_waitcnt lgkmcnt(0)
	v_cmp_lt_u64_e64 s[2:3], s[6:7], 2
	v_mov_b32_e32 v7, v4
	s_and_b64 vcc, exec, s[2:3]
	v_mov_b64_e32 v[2:3], 0
	s_cbranch_vccnz .LBB0_8
; %bb.1:
	s_load_dwordx2 s[2:3], s[0:1], 0x10
	s_add_u32 s12, s10, 8
	s_addc_u32 s13, s11, 0
	s_mov_b64 s[14:15], 1
	v_mov_b64_e32 v[2:3], 0
	s_waitcnt lgkmcnt(0)
	s_add_u32 s16, s2, 8
	s_addc_u32 s17, s3, 0
.LBB0_2:                                ; =>This Inner Loop Header: Depth=1
	s_load_dwordx2 s[18:19], s[16:17], 0x0
                                        ; implicit-def: $vgpr8_vgpr9
	s_waitcnt lgkmcnt(0)
	v_or_b32_e32 v5, s19, v7
	v_cmp_ne_u64_e32 vcc, 0, v[4:5]
	s_and_saveexec_b64 s[2:3], vcc
	s_xor_b64 s[20:21], exec, s[2:3]
	s_cbranch_execz .LBB0_4
; %bb.3:                                ;   in Loop: Header=BB0_2 Depth=1
	v_cvt_f32_u32_e32 v1, s18
	v_cvt_f32_u32_e32 v5, s19
	s_sub_u32 s2, 0, s18
	s_subb_u32 s3, 0, s19
	v_fmac_f32_e32 v1, 0x4f800000, v5
	v_rcp_f32_e32 v1, v1
	s_nop 0
	v_mul_f32_e32 v1, 0x5f7ffffc, v1
	v_mul_f32_e32 v5, 0x2f800000, v1
	v_trunc_f32_e32 v5, v5
	v_fmac_f32_e32 v1, 0xcf800000, v5
	v_cvt_u32_f32_e32 v5, v5
	v_cvt_u32_f32_e32 v1, v1
	v_mul_lo_u32 v8, s2, v5
	v_mul_hi_u32 v10, s2, v1
	v_mul_lo_u32 v9, s3, v1
	v_add_u32_e32 v10, v10, v8
	v_mul_lo_u32 v12, s2, v1
	v_add_u32_e32 v13, v10, v9
	v_mul_hi_u32 v8, v1, v12
	v_mul_hi_u32 v11, v1, v13
	v_mul_lo_u32 v10, v1, v13
	v_mov_b32_e32 v9, v4
	v_lshl_add_u64 v[8:9], v[8:9], 0, v[10:11]
	v_mul_hi_u32 v11, v5, v12
	v_mul_lo_u32 v12, v5, v12
	v_add_co_u32_e32 v8, vcc, v8, v12
	v_mul_hi_u32 v10, v5, v13
	s_nop 0
	v_addc_co_u32_e32 v8, vcc, v9, v11, vcc
	v_mov_b32_e32 v9, v4
	s_nop 0
	v_addc_co_u32_e32 v11, vcc, 0, v10, vcc
	v_mul_lo_u32 v10, v5, v13
	v_lshl_add_u64 v[8:9], v[8:9], 0, v[10:11]
	v_add_co_u32_e32 v1, vcc, v1, v8
	v_mul_lo_u32 v10, s2, v1
	s_nop 0
	v_addc_co_u32_e32 v5, vcc, v5, v9, vcc
	v_mul_lo_u32 v8, s2, v5
	v_mul_hi_u32 v9, s2, v1
	v_add_u32_e32 v8, v9, v8
	v_mul_lo_u32 v9, s3, v1
	v_add_u32_e32 v12, v8, v9
	v_mul_hi_u32 v14, v5, v10
	v_mul_lo_u32 v15, v5, v10
	v_mul_hi_u32 v9, v1, v12
	v_mul_lo_u32 v8, v1, v12
	v_mul_hi_u32 v10, v1, v10
	v_mov_b32_e32 v11, v4
	v_lshl_add_u64 v[8:9], v[10:11], 0, v[8:9]
	v_add_co_u32_e32 v8, vcc, v8, v15
	v_mul_hi_u32 v13, v5, v12
	s_nop 0
	v_addc_co_u32_e32 v8, vcc, v9, v14, vcc
	v_mul_lo_u32 v10, v5, v12
	s_nop 0
	v_addc_co_u32_e32 v11, vcc, 0, v13, vcc
	v_mov_b32_e32 v9, v4
	v_lshl_add_u64 v[8:9], v[8:9], 0, v[10:11]
	v_add_co_u32_e32 v1, vcc, v1, v8
	v_mul_hi_u32 v10, v6, v1
	s_nop 0
	v_addc_co_u32_e32 v5, vcc, v5, v9, vcc
	v_mad_u64_u32 v[8:9], s[2:3], v6, v5, 0
	v_mov_b32_e32 v11, v4
	v_lshl_add_u64 v[8:9], v[10:11], 0, v[8:9]
	v_mad_u64_u32 v[12:13], s[2:3], v7, v1, 0
	v_add_co_u32_e32 v1, vcc, v8, v12
	v_mad_u64_u32 v[10:11], s[2:3], v7, v5, 0
	s_nop 0
	v_addc_co_u32_e32 v8, vcc, v9, v13, vcc
	v_mov_b32_e32 v9, v4
	s_nop 0
	v_addc_co_u32_e32 v11, vcc, 0, v11, vcc
	v_lshl_add_u64 v[8:9], v[8:9], 0, v[10:11]
	v_mul_lo_u32 v1, s19, v8
	v_mul_lo_u32 v5, s18, v9
	v_mad_u64_u32 v[10:11], s[2:3], s18, v8, 0
	v_add3_u32 v1, v11, v5, v1
	v_sub_u32_e32 v5, v7, v1
	v_mov_b32_e32 v11, s19
	v_sub_co_u32_e32 v14, vcc, v6, v10
	v_lshl_add_u64 v[12:13], v[8:9], 0, 1
	s_nop 0
	v_subb_co_u32_e64 v5, s[2:3], v5, v11, vcc
	v_subrev_co_u32_e64 v10, s[2:3], s18, v14
	v_subb_co_u32_e32 v1, vcc, v7, v1, vcc
	s_nop 0
	v_subbrev_co_u32_e64 v5, s[2:3], 0, v5, s[2:3]
	v_cmp_le_u32_e64 s[2:3], s19, v5
	v_cmp_le_u32_e32 vcc, s19, v1
	s_nop 0
	v_cndmask_b32_e64 v11, 0, -1, s[2:3]
	v_cmp_le_u32_e64 s[2:3], s18, v10
	s_nop 1
	v_cndmask_b32_e64 v10, 0, -1, s[2:3]
	v_cmp_eq_u32_e64 s[2:3], s19, v5
	s_nop 1
	v_cndmask_b32_e64 v5, v11, v10, s[2:3]
	v_lshl_add_u64 v[10:11], v[8:9], 0, 2
	v_cmp_ne_u32_e64 s[2:3], 0, v5
	s_nop 1
	v_cndmask_b32_e64 v5, v13, v11, s[2:3]
	v_cndmask_b32_e64 v11, 0, -1, vcc
	v_cmp_le_u32_e32 vcc, s18, v14
	s_nop 1
	v_cndmask_b32_e64 v13, 0, -1, vcc
	v_cmp_eq_u32_e32 vcc, s19, v1
	s_nop 1
	v_cndmask_b32_e32 v1, v11, v13, vcc
	v_cmp_ne_u32_e32 vcc, 0, v1
	v_cndmask_b32_e64 v1, v12, v10, s[2:3]
	s_nop 0
	v_cndmask_b32_e32 v9, v9, v5, vcc
	v_cndmask_b32_e32 v8, v8, v1, vcc
.LBB0_4:                                ;   in Loop: Header=BB0_2 Depth=1
	s_andn2_saveexec_b64 s[2:3], s[20:21]
	s_cbranch_execz .LBB0_6
; %bb.5:                                ;   in Loop: Header=BB0_2 Depth=1
	v_cvt_f32_u32_e32 v1, s18
	s_sub_i32 s20, 0, s18
	v_rcp_iflag_f32_e32 v1, v1
	s_nop 0
	v_mul_f32_e32 v1, 0x4f7ffffe, v1
	v_cvt_u32_f32_e32 v1, v1
	v_mul_lo_u32 v5, s20, v1
	v_mul_hi_u32 v5, v1, v5
	v_add_u32_e32 v1, v1, v5
	v_mul_hi_u32 v1, v6, v1
	v_mul_lo_u32 v5, v1, s18
	v_sub_u32_e32 v5, v6, v5
	v_add_u32_e32 v8, 1, v1
	v_subrev_u32_e32 v9, s18, v5
	v_cmp_le_u32_e32 vcc, s18, v5
	s_nop 1
	v_cndmask_b32_e32 v5, v5, v9, vcc
	v_cndmask_b32_e32 v1, v1, v8, vcc
	v_add_u32_e32 v8, 1, v1
	v_cmp_le_u32_e32 vcc, s18, v5
	v_mov_b32_e32 v9, v4
	s_nop 0
	v_cndmask_b32_e32 v8, v1, v8, vcc
.LBB0_6:                                ;   in Loop: Header=BB0_2 Depth=1
	s_or_b64 exec, exec, s[2:3]
	v_mad_u64_u32 v[10:11], s[2:3], v8, s18, 0
	s_load_dwordx2 s[2:3], s[12:13], 0x0
	v_mul_lo_u32 v1, v9, s18
	v_mul_lo_u32 v5, v8, s19
	v_add3_u32 v1, v11, v5, v1
	v_sub_co_u32_e32 v5, vcc, v6, v10
	s_add_u32 s14, s14, 1
	s_nop 0
	v_subb_co_u32_e32 v1, vcc, v7, v1, vcc
	s_addc_u32 s15, s15, 0
	s_waitcnt lgkmcnt(0)
	v_mul_lo_u32 v1, s2, v1
	v_mul_lo_u32 v6, s3, v5
	v_mad_u64_u32 v[2:3], s[2:3], s2, v5, v[2:3]
	s_add_u32 s12, s12, 8
	v_add3_u32 v3, v6, v3, v1
	s_addc_u32 s13, s13, 0
	v_mov_b64_e32 v[6:7], s[6:7]
	s_add_u32 s16, s16, 8
	v_cmp_ge_u64_e32 vcc, s[14:15], v[6:7]
	s_addc_u32 s17, s17, 0
	s_cbranch_vccnz .LBB0_9
; %bb.7:                                ;   in Loop: Header=BB0_2 Depth=1
	v_mov_b64_e32 v[6:7], v[8:9]
	s_branch .LBB0_2
.LBB0_8:
	v_mov_b64_e32 v[8:9], v[6:7]
.LBB0_9:
	s_lshl_b64 s[2:3], s[6:7], 3
	s_add_u32 s2, s10, s2
	s_addc_u32 s3, s11, s3
	s_load_dwordx2 s[6:7], s[2:3], 0x0
	s_load_dwordx2 s[10:11], s[0:1], 0x20
	s_mov_b32 s2, 0x4924925
                                        ; implicit-def: $vgpr22
                                        ; implicit-def: $vgpr20
                                        ; implicit-def: $vgpr18
                                        ; implicit-def: $vgpr16
                                        ; implicit-def: $vgpr14
	s_waitcnt lgkmcnt(0)
	v_mul_lo_u32 v1, s6, v9
	v_mul_lo_u32 v4, s7, v8
	v_mad_u64_u32 v[2:3], s[0:1], s6, v8, v[2:3]
	v_add3_u32 v3, v4, v3, v1
	v_mul_hi_u32 v1, v0, s2
	v_mul_u32_u24_e32 v1, 56, v1
	v_cmp_gt_u64_e64 s[0:1], s[10:11], v[8:9]
	v_cmp_le_u64_e32 vcc, s[10:11], v[8:9]
	v_sub_u32_e32 v8, v0, v1
	v_add_u32_e32 v12, 56, v8
	s_and_saveexec_b64 s[2:3], vcc
	s_xor_b64 s[2:3], exec, s[2:3]
; %bb.10:
	v_add_u32_e32 v12, 56, v8
	v_add_u32_e32 v22, 0x70, v8
	;; [unrolled: 1-line block ×6, first 2 shown]
; %bb.11:
	s_or_saveexec_b64 s[2:3], s[2:3]
	v_lshl_add_u64 v[10:11], v[2:3], 3, s[8:9]
	s_xor_b64 exec, exec, s[2:3]
	s_cbranch_execz .LBB0_13
; %bb.12:
	v_mov_b32_e32 v9, 0
	v_lshl_add_u64 v[0:1], v[8:9], 3, v[10:11]
	v_add_co_u32_e32 v14, vcc, 0x1000, v0
	global_load_dwordx2 v[2:3], v[0:1], off
	global_load_dwordx2 v[4:5], v[0:1], off offset:448
	global_load_dwordx2 v[6:7], v[0:1], off offset:896
	;; [unrolled: 1-line block ×7, first 2 shown]
	v_addc_co_u32_e32 v15, vcc, 0, v1, vcc
	global_load_dwordx2 v[34:35], v[0:1], off offset:3584
	global_load_dwordx2 v[36:37], v[0:1], off offset:4032
	;; [unrolled: 1-line block ×6, first 2 shown]
	v_lshl_add_u32 v0, v8, 3, 0
	v_add_u32_e32 v22, 0x70, v8
	v_add_u32_e32 v20, 0xa8, v8
	v_add_u32_e32 v18, 0xe0, v8
	v_add_u32_e32 v16, 0x118, v8
	v_add_u32_e32 v14, 0x150, v8
	v_add_u32_e32 v1, 0x400, v0
	v_add_u32_e32 v9, 0x800, v0
	v_add_u32_e32 v13, 0x1000, v0
	s_waitcnt vmcnt(12)
	ds_write2_b64 v0, v[2:3], v[4:5] offset1:56
	s_waitcnt vmcnt(10)
	ds_write2_b64 v0, v[6:7], v[24:25] offset0:112 offset1:168
	s_waitcnt vmcnt(8)
	ds_write2_b64 v1, v[26:27], v[28:29] offset0:96 offset1:152
	;; [unrolled: 2-line block ×6, first 2 shown]
.LBB0_13:
	s_or_b64 exec, exec, s[2:3]
	v_lshlrev_b32_e32 v9, 3, v8
	v_add_u32_e32 v30, 0, v9
	v_add_u32_e32 v40, 0x1000, v30
	;; [unrolled: 1-line block ×3, first 2 shown]
	s_waitcnt lgkmcnt(0)
	; wave barrier
	s_waitcnt lgkmcnt(0)
	v_add_u32_e32 v37, 0x800, v30
	ds_read2_b64 v[4:7], v40 offset0:160 offset1:216
	ds_read2_b64 v[24:27], v38 offset0:96 offset1:152
	;; [unrolled: 1-line block ×4, first 2 shown]
	v_add_u32_e32 v13, v30, v9
	v_lshl_add_u32 v15, v12, 4, 0
	s_waitcnt lgkmcnt(2)
	v_pk_add_f32 v[50:51], v[26:27], v[4:5] neg_lo:[0,1] neg_hi:[0,1]
	s_waitcnt lgkmcnt(1)
	v_pk_add_f32 v[54:55], v[24:25], v[44:45] neg_lo:[0,1] neg_hi:[0,1]
	ds_read2_b64 v[44:47], v30 offset1:56
	s_waitcnt lgkmcnt(1)
	v_pk_add_f32 v[48:49], v[0:1], v[6:7] neg_lo:[0,1] neg_hi:[0,1]
	v_pk_fma_f32 v[52:53], v[26:27], 2.0, v[50:51] op_sel_hi:[1,0,1] neg_lo:[0,0,1] neg_hi:[0,0,1]
	ds_read2_b64 v[4:7], v30 offset0:112 offset1:168
	ds_read2_b64 v[26:29], v37 offset0:192 offset1:248
	s_waitcnt lgkmcnt(2)
	v_pk_add_f32 v[2:3], v[44:45], v[2:3] neg_lo:[0,1] neg_hi:[0,1]
	v_lshl_add_u32 v17, v22, 4, 0
	v_pk_fma_f32 v[44:45], v[44:45], 2.0, v[2:3] op_sel_hi:[1,0,1] neg_lo:[0,0,1] neg_hi:[0,0,1]
	s_waitcnt lgkmcnt(1)
	v_pk_add_f32 v[42:43], v[6:7], v[42:43] neg_lo:[0,1] neg_hi:[0,1]
	s_waitcnt lgkmcnt(0)
	v_pk_add_f32 v[28:29], v[4:5], v[28:29] neg_lo:[0,1] neg_hi:[0,1]
	v_pk_add_f32 v[26:27], v[46:47], v[26:27] neg_lo:[0,1] neg_hi:[0,1]
	v_lshl_add_u32 v34, v20, 4, 0
	v_lshl_add_u32 v33, v18, 4, 0
	;; [unrolled: 1-line block ×4, first 2 shown]
	v_pk_fma_f32 v[0:1], v[0:1], 2.0, v[48:49] op_sel_hi:[1,0,1] neg_lo:[0,0,1] neg_hi:[0,0,1]
	v_pk_fma_f32 v[24:25], v[24:25], 2.0, v[54:55] op_sel_hi:[1,0,1] neg_lo:[0,0,1] neg_hi:[0,0,1]
	;; [unrolled: 1-line block ×5, first 2 shown]
	s_waitcnt lgkmcnt(0)
	; wave barrier
	ds_write2_b64 v13, v[44:45], v[2:3] offset1:1
	ds_write2_b64 v15, v[46:47], v[26:27] offset1:1
	;; [unrolled: 1-line block ×7, first 2 shown]
	v_and_b32_e32 v45, 1, v8
	v_lshlrev_b32_e32 v0, 3, v45
	s_waitcnt lgkmcnt(0)
	; wave barrier
	s_waitcnt lgkmcnt(0)
	global_load_dwordx2 v[24:25], v0, s[4:5]
	v_lshlrev_b32_e32 v64, 1, v8
	s_movk_i32 s2, 0x7c
	s_movk_i32 s3, 0xfc
	v_lshlrev_b32_e32 v65, 1, v12
	v_lshlrev_b32_e32 v19, 3, v12
	;; [unrolled: 1-line block ×7, first 2 shown]
	v_and_or_b32 v0, v64, s2, v45
	v_and_or_b32 v1, v65, s3, v45
	v_sub_u32_e32 v39, v15, v19
	v_sub_u32_e32 v42, v17, v21
	;; [unrolled: 1-line block ×6, first 2 shown]
	v_add_u32_e32 v41, 0xc00, v30
	v_lshl_add_u32 v68, v0, 3, 0
	v_lshl_add_u32 v69, v1, 3, 0
	ds_read2_b64 v[0:3], v37 offset0:136 offset1:192
	ds_read_b64 v[26:27], v30
	ds_read_b64 v[28:29], v66
	;; [unrolled: 1-line block ×7, first 2 shown]
	ds_read_b64 v[56:57], v30 offset:5824
	s_movk_i32 s2, 0x1fc
	v_lshlrev_b32_e32 v70, 1, v18
	v_lshlrev_b32_e32 v71, 1, v16
	s_movk_i32 s3, 0x2fc
	v_lshlrev_b32_e32 v72, 1, v14
	s_movk_i32 s6, 0x2f0
	v_and_b32_e32 v92, 15, v8
	s_mov_b32 s16, 0x3d64c772
	s_mov_b32 s17, 0x3f4a47b2
	;; [unrolled: 1-line block ×7, first 2 shown]
	v_cmp_ne_u32_e32 vcc, 0, v8
	s_waitcnt vmcnt(0) lgkmcnt(8)
	v_pk_mul_f32 v[4:5], v[24:25], v[0:1] op_sel:[0,1]
	v_pk_mul_f32 v[6:7], v[24:25], v[2:3] op_sel:[0,1]
	v_pk_fma_f32 v[58:59], v[24:25], v[0:1], v[4:5] op_sel:[0,0,1] op_sel_hi:[1,1,0] neg_lo:[0,0,1] neg_hi:[0,0,1]
	v_pk_fma_f32 v[4:5], v[24:25], v[0:1], v[4:5] op_sel:[0,0,1] op_sel_hi:[1,0,0]
	v_pk_fma_f32 v[60:61], v[24:25], v[2:3], v[6:7] op_sel:[0,0,1] op_sel_hi:[1,1,0] neg_lo:[0,0,1] neg_hi:[0,0,1]
	v_pk_fma_f32 v[62:63], v[24:25], v[2:3], v[6:7] op_sel:[0,0,1] op_sel_hi:[1,0,0]
	ds_read2_b64 v[0:3], v41 offset0:120 offset1:176
	v_mov_b32_e32 v59, v5
	v_mov_b32_e32 v61, v63
	s_waitcnt lgkmcnt(8)
	v_pk_add_f32 v[58:59], v[26:27], v[58:59] neg_lo:[0,1] neg_hi:[0,1]
	s_waitcnt lgkmcnt(2)
	v_pk_add_f32 v[60:61], v[54:55], v[60:61] neg_lo:[0,1] neg_hi:[0,1]
	v_pk_fma_f32 v[26:27], v[26:27], 2.0, v[58:59] op_sel_hi:[1,0,1] neg_lo:[0,0,1] neg_hi:[0,0,1]
	ds_read2_b64 v[4:7], v40 offset0:104 offset1:160
	s_waitcnt lgkmcnt(0)
	; wave barrier
	s_waitcnt lgkmcnt(0)
	v_pk_fma_f32 v[54:55], v[54:55], 2.0, v[60:61] op_sel_hi:[1,0,1] neg_lo:[0,0,1] neg_hi:[0,0,1]
	ds_write2_b64 v68, v[26:27], v[58:59] offset1:2
	ds_write2_b64 v69, v[54:55], v[60:61] offset1:2
	v_pk_mul_f32 v[26:27], v[24:25], v[0:1] op_sel:[0,1]
	v_lshlrev_b32_e32 v68, 1, v22
	v_pk_fma_f32 v[54:55], v[24:25], v[0:1], v[26:27] op_sel:[0,0,1] op_sel_hi:[1,1,0] neg_lo:[0,0,1] neg_hi:[0,0,1]
	v_pk_fma_f32 v[0:1], v[24:25], v[0:1], v[26:27] op_sel:[0,0,1] op_sel_hi:[1,0,0]
	v_lshlrev_b32_e32 v69, 1, v20
	v_mov_b32_e32 v55, v1
	v_and_or_b32 v0, v68, s2, v45
	v_lshl_add_u32 v58, v0, 3, 0
	v_pk_add_f32 v[0:1], v[52:53], v[54:55] neg_lo:[0,1] neg_hi:[0,1]
	s_nop 0
	v_pk_fma_f32 v[26:27], v[52:53], 2.0, v[0:1] op_sel_hi:[1,0,1] neg_lo:[0,0,1] neg_hi:[0,0,1]
	ds_write2_b64 v58, v[26:27], v[0:1] offset1:2
	v_pk_mul_f32 v[0:1], v[24:25], v[2:3] op_sel:[0,1]
	s_nop 0
	v_pk_fma_f32 v[26:27], v[24:25], v[2:3], v[0:1] op_sel:[0,0,1] op_sel_hi:[1,1,0] neg_lo:[0,0,1] neg_hi:[0,0,1]
	v_pk_fma_f32 v[0:1], v[24:25], v[2:3], v[0:1] op_sel:[0,0,1] op_sel_hi:[1,0,0]
	s_nop 0
	v_mov_b32_e32 v27, v1
	v_and_or_b32 v0, v69, s2, v45
	v_lshl_add_u32 v52, v0, 3, 0
	v_pk_add_f32 v[0:1], v[28:29], v[26:27] neg_lo:[0,1] neg_hi:[0,1]
	s_movk_i32 s2, 0x3fc
	v_pk_fma_f32 v[2:3], v[28:29], 2.0, v[0:1] op_sel_hi:[1,0,1] neg_lo:[0,0,1] neg_hi:[0,0,1]
	ds_write2_b64 v52, v[2:3], v[0:1] offset1:2
	v_pk_mul_f32 v[0:1], v[24:25], v[6:7] op_sel:[0,1]
	s_nop 0
	v_pk_fma_f32 v[2:3], v[24:25], v[6:7], v[0:1] op_sel:[0,0,1] op_sel_hi:[1,1,0] neg_lo:[0,0,1] neg_hi:[0,0,1]
	v_pk_fma_f32 v[0:1], v[24:25], v[6:7], v[0:1] op_sel:[0,0,1] op_sel_hi:[1,0,0]
	v_pk_mul_f32 v[6:7], v[24:25], v[4:5] op_sel:[0,1]
	v_and_or_b32 v0, v70, s2, v45
	v_pk_fma_f32 v[26:27], v[24:25], v[4:5], v[6:7] op_sel:[0,0,1] op_sel_hi:[1,1,0] neg_lo:[0,0,1] neg_hi:[0,0,1]
	v_pk_fma_f32 v[4:5], v[24:25], v[4:5], v[6:7] op_sel:[0,0,1] op_sel_hi:[1,0,0]
	v_pk_mul_f32 v[6:7], v[24:25], v[56:57] op_sel:[0,1]
	v_mov_b32_e32 v27, v5
	v_pk_fma_f32 v[28:29], v[24:25], v[56:57], v[6:7] op_sel:[0,0,1] op_sel_hi:[1,1,0] neg_lo:[0,0,1] neg_hi:[0,0,1]
	v_pk_fma_f32 v[6:7], v[24:25], v[56:57], v[6:7] op_sel:[0,0,1] op_sel_hi:[1,0,0]
	v_lshl_add_u32 v52, v0, 3, 0
	v_and_or_b32 v0, v71, s3, v45
	v_mov_b32_e32 v29, v7
	v_mov_b32_e32 v3, v1
	v_lshl_add_u32 v53, v0, 3, 0
	v_and_or_b32 v0, v72, s2, v45
	v_pk_add_f32 v[24:25], v[46:47], v[26:27] neg_lo:[0,1] neg_hi:[0,1]
	v_lshl_add_u32 v45, v0, 3, 0
	v_pk_add_f32 v[0:1], v[50:51], v[28:29] neg_lo:[0,1] neg_hi:[0,1]
	v_pk_add_f32 v[2:3], v[48:49], v[2:3] neg_lo:[0,1] neg_hi:[0,1]
	v_pk_fma_f32 v[26:27], v[46:47], 2.0, v[24:25] op_sel_hi:[1,0,1] neg_lo:[0,0,1] neg_hi:[0,0,1]
	v_pk_fma_f32 v[4:5], v[50:51], 2.0, v[0:1] op_sel_hi:[1,0,1] neg_lo:[0,0,1] neg_hi:[0,0,1]
	;; [unrolled: 1-line block ×3, first 2 shown]
	ds_write2_b64 v52, v[26:27], v[24:25] offset1:2
	ds_write2_b64 v53, v[6:7], v[2:3] offset1:2
	;; [unrolled: 1-line block ×3, first 2 shown]
	v_and_b32_e32 v45, 3, v8
	v_lshlrev_b32_e32 v0, 3, v45
	s_waitcnt lgkmcnt(0)
	; wave barrier
	s_waitcnt lgkmcnt(0)
	global_load_dwordx2 v[28:29], v0, s[4:5] offset:16
	s_movk_i32 s2, 0x78
	v_and_or_b32 v0, v64, s2, v45
	v_lshl_add_u32 v73, v0, 3, 0
	ds_read2_b64 v[0:3], v37 offset0:136 offset1:192
	ds_read_b64 v[46:47], v30
	ds_read_b64 v[48:49], v66
	;; [unrolled: 1-line block ×7, first 2 shown]
	ds_read_b64 v[60:61], v30 offset:5824
	s_movk_i32 s2, 0xf8
	s_movk_i32 s3, 0x2f8
	s_waitcnt vmcnt(0) lgkmcnt(8)
	v_pk_mul_f32 v[4:5], v[28:29], v[0:1] op_sel:[0,1]
	s_nop 0
	v_pk_fma_f32 v[62:63], v[28:29], v[0:1], v[4:5] op_sel:[0,0,1] op_sel_hi:[1,1,0] neg_lo:[0,0,1] neg_hi:[0,0,1]
	v_pk_fma_f32 v[0:1], v[28:29], v[0:1], v[4:5] op_sel:[0,0,1] op_sel_hi:[1,0,0]
	ds_read2_b64 v[4:7], v41 offset0:120 offset1:176
	ds_read2_b64 v[24:27], v40 offset0:104 offset1:160
	v_mov_b32_e32 v63, v1
	s_waitcnt lgkmcnt(9)
	v_pk_add_f32 v[0:1], v[46:47], v[62:63] neg_lo:[0,1] neg_hi:[0,1]
	s_waitcnt lgkmcnt(0)
	v_pk_fma_f32 v[46:47], v[46:47], 2.0, v[0:1] op_sel_hi:[1,0,1] neg_lo:[0,0,1] neg_hi:[0,0,1]
	; wave barrier
	ds_write2_b64 v73, v[46:47], v[0:1] offset1:4
	v_pk_mul_f32 v[0:1], v[28:29], v[2:3] op_sel:[0,1]
	s_nop 0
	v_pk_fma_f32 v[46:47], v[28:29], v[2:3], v[0:1] op_sel:[0,0,1] op_sel_hi:[1,1,0] neg_lo:[0,0,1] neg_hi:[0,0,1]
	v_pk_fma_f32 v[0:1], v[28:29], v[2:3], v[0:1] op_sel:[0,0,1] op_sel_hi:[1,0,0]
	s_nop 0
	v_mov_b32_e32 v47, v1
	v_and_or_b32 v0, v65, s2, v45
	v_lshl_add_u32 v62, v0, 3, 0
	v_pk_add_f32 v[0:1], v[58:59], v[46:47] neg_lo:[0,1] neg_hi:[0,1]
	s_movk_i32 s2, 0x1f8
	v_pk_fma_f32 v[2:3], v[58:59], 2.0, v[0:1] op_sel_hi:[1,0,1] neg_lo:[0,0,1] neg_hi:[0,0,1]
	ds_write2_b64 v62, v[2:3], v[0:1] offset1:4
	v_pk_mul_f32 v[0:1], v[28:29], v[4:5] op_sel:[0,1]
	s_nop 0
	v_pk_fma_f32 v[2:3], v[28:29], v[4:5], v[0:1] op_sel:[0,0,1] op_sel_hi:[1,1,0] neg_lo:[0,0,1] neg_hi:[0,0,1]
	v_pk_fma_f32 v[0:1], v[28:29], v[4:5], v[0:1] op_sel:[0,0,1] op_sel_hi:[1,0,0]
	s_nop 0
	v_mov_b32_e32 v3, v1
	v_and_or_b32 v0, v68, s2, v45
	v_lshl_add_u32 v4, v0, 3, 0
	v_pk_add_f32 v[0:1], v[56:57], v[2:3] neg_lo:[0,1] neg_hi:[0,1]
	s_nop 0
	v_pk_fma_f32 v[2:3], v[56:57], 2.0, v[0:1] op_sel_hi:[1,0,1] neg_lo:[0,0,1] neg_hi:[0,0,1]
	ds_write2_b64 v4, v[2:3], v[0:1] offset1:4
	v_pk_mul_f32 v[0:1], v[28:29], v[6:7] op_sel:[0,1]
	s_nop 0
	v_pk_fma_f32 v[2:3], v[28:29], v[6:7], v[0:1] op_sel:[0,0,1] op_sel_hi:[1,1,0] neg_lo:[0,0,1] neg_hi:[0,0,1]
	v_pk_fma_f32 v[0:1], v[28:29], v[6:7], v[0:1] op_sel:[0,0,1] op_sel_hi:[1,0,0]
	s_nop 0
	v_mov_b32_e32 v3, v1
	v_and_or_b32 v0, v69, s2, v45
	v_lshl_add_u32 v4, v0, 3, 0
	v_pk_add_f32 v[0:1], v[48:49], v[2:3] neg_lo:[0,1] neg_hi:[0,1]
	s_movk_i32 s2, 0x3f8
	v_pk_fma_f32 v[2:3], v[48:49], 2.0, v[0:1] op_sel_hi:[1,0,1] neg_lo:[0,0,1] neg_hi:[0,0,1]
	ds_write2_b64 v4, v[2:3], v[0:1] offset1:4
	v_pk_mul_f32 v[0:1], v[28:29], v[26:27] op_sel:[0,1]
	v_pk_mul_f32 v[4:5], v[28:29], v[24:25] op_sel:[0,1]
	v_pk_fma_f32 v[2:3], v[28:29], v[26:27], v[0:1] op_sel:[0,0,1] op_sel_hi:[1,1,0] neg_lo:[0,0,1] neg_hi:[0,0,1]
	v_pk_fma_f32 v[0:1], v[28:29], v[26:27], v[0:1] op_sel:[0,0,1] op_sel_hi:[1,0,0]
	v_pk_fma_f32 v[6:7], v[28:29], v[24:25], v[4:5] op_sel:[0,0,1] op_sel_hi:[1,1,0] neg_lo:[0,0,1] neg_hi:[0,0,1]
	v_pk_fma_f32 v[4:5], v[28:29], v[24:25], v[4:5] op_sel:[0,0,1] op_sel_hi:[1,0,0]
	v_pk_mul_f32 v[24:25], v[28:29], v[60:61] op_sel:[0,1]
	v_and_or_b32 v0, v70, s2, v45
	v_pk_fma_f32 v[26:27], v[28:29], v[60:61], v[24:25] op_sel:[0,0,1] op_sel_hi:[1,1,0] neg_lo:[0,0,1] neg_hi:[0,0,1]
	v_pk_fma_f32 v[24:25], v[28:29], v[60:61], v[24:25] op_sel:[0,0,1] op_sel_hi:[1,0,0]
	v_mov_b32_e32 v7, v5
	v_lshl_add_u32 v28, v0, 3, 0
	v_and_or_b32 v0, v71, s3, v45
	v_mov_b32_e32 v27, v25
	v_mov_b32_e32 v3, v1
	v_lshl_add_u32 v29, v0, 3, 0
	v_and_or_b32 v0, v72, s2, v45
	v_pk_add_f32 v[6:7], v[50:51], v[6:7] neg_lo:[0,1] neg_hi:[0,1]
	v_lshl_add_u32 v45, v0, 3, 0
	v_pk_add_f32 v[0:1], v[54:55], v[26:27] neg_lo:[0,1] neg_hi:[0,1]
	v_pk_add_f32 v[2:3], v[52:53], v[2:3] neg_lo:[0,1] neg_hi:[0,1]
	v_pk_fma_f32 v[26:27], v[50:51], 2.0, v[6:7] op_sel_hi:[1,0,1] neg_lo:[0,0,1] neg_hi:[0,0,1]
	v_pk_fma_f32 v[4:5], v[54:55], 2.0, v[0:1] op_sel_hi:[1,0,1] neg_lo:[0,0,1] neg_hi:[0,0,1]
	;; [unrolled: 1-line block ×3, first 2 shown]
	ds_write2_b64 v28, v[26:27], v[6:7] offset1:4
	ds_write2_b64 v29, v[24:25], v[2:3] offset1:4
	;; [unrolled: 1-line block ×3, first 2 shown]
	v_and_b32_e32 v45, 7, v8
	v_lshlrev_b32_e32 v0, 3, v45
	s_waitcnt lgkmcnt(0)
	; wave barrier
	s_waitcnt lgkmcnt(0)
	global_load_dwordx2 v[28:29], v0, s[4:5] offset:48
	s_movk_i32 s3, 0x70
	v_and_or_b32 v0, v64, s3, v45
	v_lshl_add_u32 v64, v0, 3, 0
	ds_read2_b64 v[0:3], v37 offset0:136 offset1:192
	ds_read_b64 v[46:47], v30
	ds_read_b64 v[48:49], v66
	;; [unrolled: 1-line block ×7, first 2 shown]
	ds_read_b64 v[60:61], v30 offset:5824
	ds_read2_b64 v[4:7], v41 offset0:120 offset1:176
	s_movk_i32 s2, 0xf0
	s_waitcnt vmcnt(0) lgkmcnt(9)
	v_pk_mul_f32 v[24:25], v[28:29], v[0:1] op_sel:[0,1]
	s_nop 0
	v_pk_fma_f32 v[62:63], v[28:29], v[0:1], v[24:25] op_sel:[0,0,1] op_sel_hi:[1,1,0] neg_lo:[0,0,1] neg_hi:[0,0,1]
	v_pk_fma_f32 v[0:1], v[28:29], v[0:1], v[24:25] op_sel:[0,0,1] op_sel_hi:[1,0,0]
	ds_read2_b64 v[24:27], v40 offset0:104 offset1:160
	v_mov_b32_e32 v63, v1
	s_waitcnt lgkmcnt(9)
	v_pk_add_f32 v[0:1], v[46:47], v[62:63] neg_lo:[0,1] neg_hi:[0,1]
	s_waitcnt lgkmcnt(0)
	v_pk_fma_f32 v[46:47], v[46:47], 2.0, v[0:1] op_sel_hi:[1,0,1] neg_lo:[0,0,1] neg_hi:[0,0,1]
	; wave barrier
	ds_write2_b64 v64, v[46:47], v[0:1] offset1:8
	v_pk_mul_f32 v[0:1], v[28:29], v[2:3] op_sel:[0,1]
	s_nop 0
	v_pk_fma_f32 v[46:47], v[28:29], v[2:3], v[0:1] op_sel:[0,0,1] op_sel_hi:[1,1,0] neg_lo:[0,0,1] neg_hi:[0,0,1]
	v_pk_fma_f32 v[0:1], v[28:29], v[2:3], v[0:1] op_sel:[0,0,1] op_sel_hi:[1,0,0]
	s_nop 0
	v_mov_b32_e32 v47, v1
	v_and_or_b32 v0, v65, s2, v45
	v_lshl_add_u32 v62, v0, 3, 0
	v_pk_add_f32 v[0:1], v[58:59], v[46:47] neg_lo:[0,1] neg_hi:[0,1]
	s_movk_i32 s2, 0x1f0
	v_pk_fma_f32 v[2:3], v[58:59], 2.0, v[0:1] op_sel_hi:[1,0,1] neg_lo:[0,0,1] neg_hi:[0,0,1]
	ds_write2_b64 v62, v[2:3], v[0:1] offset1:8
	v_pk_mul_f32 v[0:1], v[28:29], v[4:5] op_sel:[0,1]
	s_nop 0
	v_pk_fma_f32 v[2:3], v[28:29], v[4:5], v[0:1] op_sel:[0,0,1] op_sel_hi:[1,1,0] neg_lo:[0,0,1] neg_hi:[0,0,1]
	v_pk_fma_f32 v[0:1], v[28:29], v[4:5], v[0:1] op_sel:[0,0,1] op_sel_hi:[1,0,0]
	s_nop 0
	v_mov_b32_e32 v3, v1
	v_and_or_b32 v0, v68, s2, v45
	v_lshl_add_u32 v4, v0, 3, 0
	v_pk_add_f32 v[0:1], v[56:57], v[2:3] neg_lo:[0,1] neg_hi:[0,1]
	s_nop 0
	v_pk_fma_f32 v[2:3], v[56:57], 2.0, v[0:1] op_sel_hi:[1,0,1] neg_lo:[0,0,1] neg_hi:[0,0,1]
	ds_write2_b64 v4, v[2:3], v[0:1] offset1:8
	v_pk_mul_f32 v[0:1], v[28:29], v[26:27] op_sel:[0,1]
	v_pk_mul_f32 v[4:5], v[28:29], v[24:25] op_sel:[0,1]
	v_pk_fma_f32 v[2:3], v[28:29], v[26:27], v[0:1] op_sel:[0,0,1] op_sel_hi:[1,1,0] neg_lo:[0,0,1] neg_hi:[0,0,1]
	v_pk_fma_f32 v[0:1], v[28:29], v[26:27], v[0:1] op_sel:[0,0,1] op_sel_hi:[1,0,0]
	v_pk_fma_f32 v[26:27], v[28:29], v[24:25], v[4:5] op_sel:[0,0,1] op_sel_hi:[1,1,0] neg_lo:[0,0,1] neg_hi:[0,0,1]
	v_pk_fma_f32 v[4:5], v[28:29], v[24:25], v[4:5] op_sel:[0,0,1] op_sel_hi:[1,0,0]
	v_pk_mul_f32 v[24:25], v[28:29], v[6:7] op_sel:[0,1]
	v_and_or_b32 v0, v69, s2, v45
	v_pk_fma_f32 v[46:47], v[28:29], v[6:7], v[24:25] op_sel:[0,0,1] op_sel_hi:[1,1,0] neg_lo:[0,0,1] neg_hi:[0,0,1]
	v_pk_fma_f32 v[6:7], v[28:29], v[6:7], v[24:25] op_sel:[0,0,1] op_sel_hi:[1,0,0]
	v_pk_mul_f32 v[24:25], v[28:29], v[60:61] op_sel:[0,1]
	s_movk_i32 s2, 0x3f0
	v_pk_fma_f32 v[56:57], v[28:29], v[60:61], v[24:25] op_sel:[0,0,1] op_sel_hi:[1,1,0] neg_lo:[0,0,1] neg_hi:[0,0,1]
	v_pk_fma_f32 v[24:25], v[28:29], v[60:61], v[24:25] op_sel:[0,0,1] op_sel_hi:[1,0,0]
	v_and_or_b32 v6, v72, s2, v45
	v_mov_b32_e32 v47, v7
	v_mov_b32_e32 v57, v25
	;; [unrolled: 1-line block ×3, first 2 shown]
	v_and_or_b32 v1, v70, s2, v45
	v_and_or_b32 v4, v71, s6, v45
	v_lshl_add_u32 v60, v6, 3, 0
	v_mov_b32_e32 v27, v5
	v_pk_add_f32 v[6:7], v[48:49], v[46:47] neg_lo:[0,1] neg_hi:[0,1]
	v_lshl_add_u32 v45, v0, 3, 0
	v_lshl_add_u32 v58, v1, 3, 0
	;; [unrolled: 1-line block ×3, first 2 shown]
	v_pk_add_f32 v[0:1], v[54:55], v[56:57] neg_lo:[0,1] neg_hi:[0,1]
	v_pk_add_f32 v[2:3], v[52:53], v[2:3] neg_lo:[0,1] neg_hi:[0,1]
	;; [unrolled: 1-line block ×3, first 2 shown]
	v_pk_fma_f32 v[46:47], v[48:49], 2.0, v[6:7] op_sel_hi:[1,0,1] neg_lo:[0,0,1] neg_hi:[0,0,1]
	v_pk_fma_f32 v[24:25], v[54:55], 2.0, v[0:1] op_sel_hi:[1,0,1] neg_lo:[0,0,1] neg_hi:[0,0,1]
	;; [unrolled: 1-line block ×4, first 2 shown]
	ds_write2_b64 v45, v[46:47], v[6:7] offset1:8
	ds_write2_b64 v58, v[26:27], v[4:5] offset1:8
	;; [unrolled: 1-line block ×4, first 2 shown]
	v_and_b32_e32 v45, 15, v12
	v_mul_u32_u24_e32 v0, 6, v45
	v_lshlrev_b32_e32 v4, 3, v0
	s_waitcnt lgkmcnt(0)
	; wave barrier
	s_waitcnt lgkmcnt(0)
	global_load_dwordx4 v[46:49], v4, s[4:5] offset:144
	v_mul_u32_u24_e32 v0, 6, v92
	v_lshlrev_b32_e32 v70, 3, v0
	global_load_dwordx4 v[0:3], v70, s[4:5] offset:144
	global_load_dwordx4 v[50:53], v4, s[4:5] offset:112
	;; [unrolled: 1-line block ×3, first 2 shown]
	ds_read2_b64 v[4:7], v40 offset0:160 offset1:216
	ds_read2_b64 v[58:61], v37 offset0:24 offset1:136
	s_mov_b32 s6, 0x3eae86e6
	s_mov_b32 s7, 0xbf08b237
	;; [unrolled: 1-line block ×5, first 2 shown]
	s_waitcnt vmcnt(3) lgkmcnt(1)
	v_pk_mul_f32 v[26:27], v[6:7], v[48:49] op_sel_hi:[1,0]
	v_mov_b32_e32 v24, v49
	v_mov_b32_e32 v28, v49
	s_waitcnt vmcnt(2)
	v_pk_mul_f32 v[48:49], v[4:5], v[2:3] op_sel_hi:[1,0]
	v_mov_b32_e32 v62, v3
	v_mov_b32_e32 v64, v3
	v_pk_fma_f32 v[72:73], v[4:5], v[62:63], v[48:49] op_sel:[0,0,1] op_sel_hi:[1,1,0]
	v_pk_fma_f32 v[74:75], v[4:5], v[64:65], v[48:49] op_sel:[0,0,1] op_sel_hi:[1,0,0] neg_lo:[1,0,0] neg_hi:[1,0,0]
	ds_read2_b64 v[62:65], v40 offset0:48 offset1:104
	v_pk_fma_f32 v[2:3], v[6:7], v[28:29], v[26:27] op_sel:[0,0,1] op_sel_hi:[1,0,0] neg_lo:[1,0,0] neg_hi:[1,0,0]
	s_waitcnt vmcnt(1) lgkmcnt(1)
	v_pk_mul_f32 v[4:5], v[58:59], v[52:53]
	v_pk_fma_f32 v[24:25], v[6:7], v[24:25], v[26:27] op_sel:[0,0,1] op_sel_hi:[1,1,0]
	v_mov_b32_e32 v2, v5
	s_waitcnt lgkmcnt(0)
	v_pk_mul_f32 v[6:7], v[64:65], v[46:47]
	v_pk_fma_f32 v[4:5], v[58:59], v[52:53], v[2:3] neg_lo:[0,0,1] neg_hi:[0,0,1]
	v_mov_b32_e32 v2, v7
	s_waitcnt vmcnt(0)
	v_mul_f32_e32 v5, v61, v54
	v_pk_fma_f32 v[26:27], v[64:65], v[46:47], v[2:3] neg_lo:[0,0,1] neg_hi:[0,0,1]
	v_mov_b32_e32 v6, v65
	v_mov_b32_e32 v49, v54
	;; [unrolled: 1-line block ×6, first 2 shown]
	v_pk_mul_f32 v[64:65], v[64:65], v[54:55]
	ds_read_b64 v[68:69], v42
	ds_read_b64 v[76:77], v43
	ds_read_b64 v[78:79], v44
	ds_read_b64 v[80:81], v39
	v_pk_fma_f32 v[28:29], v[6:7], v[46:47], v[64:65]
	v_pk_fma_f32 v[6:7], v[6:7], v[48:49], v[64:65] neg_lo:[0,0,1] neg_hi:[0,0,1]
	global_load_dwordx4 v[46:49], v70, s[4:5] offset:112
	global_load_dwordx4 v[64:67], v70, s[4:5] offset:128
	s_waitcnt lgkmcnt(3)
	v_mov_b32_e32 v2, v69
	v_mul_f32_e32 v27, v60, v55
	v_mov_b32_e32 v73, v75
	v_mov_b32_e32 v25, v3
	;; [unrolled: 1-line block ×4, first 2 shown]
	s_waitcnt vmcnt(1)
	v_pk_mul_f32 v[70:71], v[46:47], v[68:69] op_sel_hi:[1,0]
	s_nop 0
	v_pk_fma_f32 v[82:83], v[46:47], v[2:3], v[70:71] op_sel:[0,0,1] op_sel_hi:[1,1,0]
	v_pk_fma_f32 v[84:85], v[46:47], v[68:69], v[70:71] op_sel:[0,1,1] op_sel_hi:[1,1,0] neg_lo:[1,0,0] neg_hi:[1,0,0]
	ds_read2_b64 v[68:71], v37 offset0:192 offset1:248
	s_waitcnt lgkmcnt(3)
	v_mov_b32_e32 v46, v76
	v_mov_b32_e32 v86, v49
	s_waitcnt vmcnt(0)
	v_mov_b32_e32 v87, v67
	v_mul_f32_e32 v2, v49, v77
	s_waitcnt lgkmcnt(0)
	v_mov_b32_e32 v47, v69
	v_pk_mul_f32 v[46:47], v[86:87], v[46:47]
	v_fma_f32 v54, v48, v76, -v2
	v_mov_b32_e32 v76, v77
	v_mov_b32_e32 v77, v68
	;; [unrolled: 1-line block ×4, first 2 shown]
	v_pk_fma_f32 v[88:89], v[48:49], v[76:77], v[46:47]
	v_pk_fma_f32 v[76:77], v[86:87], v[76:77], v[46:47] neg_lo:[0,0,1] neg_hi:[0,0,1]
	v_mov_b32_e32 v46, v59
	v_mov_b32_e32 v59, v71
	v_mul_f32_e32 v61, v71, v56
	v_mov_b32_e32 v49, v56
	v_mov_b32_e32 v56, v53
	v_pk_mul_f32 v[58:59], v[58:59], v[56:57]
	v_mul_f32_e32 v57, v70, v57
	v_mov_b32_e32 v47, v70
	v_mov_b32_e32 v70, v62
	;; [unrolled: 1-line block ×3, first 2 shown]
	v_mul_f32_e32 v55, v64, v79
	v_mov_b32_e32 v79, v64
	v_mov_b32_e32 v64, v1
	v_mul_f32_e32 v2, v1, v63
	v_pk_mul_f32 v[70:71], v[64:65], v[70:71]
	v_mul_f32_e32 v65, v65, v78
	v_fma_f32 v64, v0, v62, -v2
	v_mov_b32_e32 v62, v63
	v_mov_b32_e32 v63, v78
	;; [unrolled: 1-line block ×4, first 2 shown]
	v_pk_fma_f32 v[0:1], v[0:1], v[62:63], v[70:71]
	v_pk_fma_f32 v[62:63], v[78:79], v[62:63], v[70:71] neg_lo:[0,0,1] neg_hi:[0,0,1]
	v_pk_fma_f32 v[70:71], v[46:47], v[48:49], v[58:59] neg_lo:[0,0,1] neg_hi:[0,0,1]
	v_pk_fma_f32 v[52:53], v[46:47], v[52:53], v[58:59]
	ds_read2_b64 v[46:49], v30 offset1:168
	v_mul_f32_e32 v69, v66, v69
	v_mul_f32_e32 v67, v67, v68
	v_mov_b32_e32 v68, v85
	v_mov_b32_e32 v66, v75
	s_waitcnt lgkmcnt(0)
	v_pk_mul_f32 v[58:59], v[48:49], v[50:51] op_sel_hi:[1,0]
	v_mov_b32_e32 v2, v51
	v_mov_b32_e32 v83, v85
	v_mov_b32_e32 v89, v77
	v_mov_b32_e32 v1, v63
	v_pk_add_f32 v[66:67], v[68:69], v[66:67]
	v_pk_add_f32 v[68:69], v[54:55], v[64:65]
	v_pk_fma_f32 v[50:51], v[48:49], v[50:51], v[58:59] op_sel:[0,1,1] op_sel_hi:[1,1,0] neg_lo:[1,0,0] neg_hi:[1,0,0]
	v_pk_fma_f32 v[48:49], v[48:49], v[2:3], v[58:59] op_sel:[0,0,1] op_sel_hi:[1,1,0]
	v_pk_add_f32 v[58:59], v[82:83], v[72:73]
	v_pk_add_f32 v[78:79], v[88:89], v[0:1]
	v_mov_b32_e32 v55, v54
	v_mov_b32_e32 v54, v67
	;; [unrolled: 1-line block ×4, first 2 shown]
	v_pk_add_f32 v[54:55], v[54:55], v[64:65] neg_lo:[0,1] neg_hi:[0,1]
	v_mov_b32_e32 v62, v63
	v_mov_b32_e32 v63, v78
	;; [unrolled: 1-line block ×4, first 2 shown]
	v_pk_add_f32 v[72:73], v[82:83], v[72:73] neg_lo:[0,1] neg_hi:[0,1]
	v_pk_add_f32 v[62:63], v[62:63], v[64:65]
	v_pk_add_f32 v[64:65], v[68:69], v[66:67]
	v_pk_add_f32 v[0:1], v[88:89], v[0:1] neg_lo:[0,1] neg_hi:[0,1]
	v_mov_b32_e32 v69, v65
	v_mov_b32_e32 v76, v54
	;; [unrolled: 1-line block ×6, first 2 shown]
	v_pk_add_f32 v[64:65], v[64:65], v[62:63]
	v_mov_b32_e32 v74, v72
	v_mov_b32_e32 v75, v1
	v_pk_add_f32 v[76:77], v[76:77], v[0:1] neg_lo:[0,1] neg_hi:[0,1]
	v_pk_add_f32 v[84:85], v[84:85], v[68:69] neg_lo:[0,1] neg_hi:[0,1]
	v_mov_b32_e32 v63, v78
	v_pk_add_f32 v[46:47], v[64:65], v[46:47]
	v_pk_add_f32 v[74:75], v[74:75], v[54:55] neg_lo:[0,1] neg_hi:[0,1]
	v_pk_mul_f32 v[76:77], v[76:77], s[18:19]
	v_pk_add_f32 v[82:83], v[0:1], v[54:55]
	v_pk_add_f32 v[62:63], v[66:67], v[62:63] neg_lo:[0,1] neg_hi:[0,1]
	v_pk_mul_f32 v[84:85], v[84:85], s[16:17]
	v_pk_add_f32 v[82:83], v[82:83], v[72:73]
	v_pk_fma_f32 v[64:65], v[64:65], s[12:13], v[46:47] op_sel_hi:[1,0,1] neg_lo:[1,0,0] neg_hi:[1,0,0]
	v_pk_fma_f32 v[86:87], v[62:63], s[8:9], v[84:85]
	v_pk_fma_f32 v[88:89], v[74:75], s[6:7], v[76:77]
	v_lshrrev_b32_e32 v1, 4, v8
	v_pk_add_f32 v[86:87], v[86:87], v[64:65]
	v_pk_fma_f32 v[88:89], v[82:83], s[2:3], v[88:89] op_sel_hi:[1,0,1]
	v_mul_u32_u24_e32 v1, 0x70, v1
	v_pk_add_f32 v[90:91], v[86:87], v[88:89]
	v_pk_add_f32 v[86:87], v[86:87], v[88:89] neg_lo:[0,1] neg_hi:[0,1]
	v_or_b32_e32 v1, v1, v92
	v_lshl_add_u32 v50, v1, 3, 0
	v_mov_b32_e32 v88, v90
	v_mov_b32_e32 v89, v87
	v_mov_b32_e32 v1, v55
	v_mov_b32_e32 v69, v78
	v_mov_b32_e32 v67, v58
	v_pk_mul_f32 v[54:55], v[74:75], s[6:7]
	v_pk_mul_f32 v[58:59], v[62:63], s[8:9]
	s_waitcnt lgkmcnt(0)
	; wave barrier
	ds_write2_b64 v50, v[46:47], v[88:89] offset1:16
	v_pk_add_f32 v[0:1], v[0:1], v[72:73] neg_lo:[0,1] neg_hi:[0,1]
	v_pk_add_f32 v[46:47], v[68:69], v[66:67] neg_lo:[0,1] neg_hi:[0,1]
	v_mov_b32_e32 v62, v58
	v_mov_b32_e32 v63, v85
	;; [unrolled: 1-line block ×6, first 2 shown]
	v_pk_fma_f32 v[62:63], v[46:47], s[14:15], v[62:63] op_sel_hi:[1,0,1] neg_lo:[1,0,1] neg_hi:[1,0,1]
	v_pk_fma_f32 v[66:67], v[0:1], s[10:11], v[66:67] op_sel_hi:[1,0,1] neg_lo:[1,0,1] neg_hi:[1,0,1]
	v_pk_fma_f32 v[46:47], v[46:47], s[14:15], v[84:85] op_sel_hi:[1,0,1] neg_lo:[0,0,1] neg_hi:[0,0,1]
	v_pk_fma_f32 v[0:1], v[0:1], s[10:11], v[76:77] op_sel_hi:[1,0,1] neg_lo:[0,0,1] neg_hi:[0,0,1]
	v_pk_add_f32 v[62:63], v[62:63], v[64:65]
	v_pk_fma_f32 v[66:67], v[82:83], s[2:3], v[66:67] op_sel_hi:[1,0,1]
	v_pk_add_f32 v[46:47], v[46:47], v[64:65]
	v_pk_fma_f32 v[0:1], v[82:83], s[2:3], v[0:1] op_sel_hi:[1,0,1]
	v_pk_add_f32 v[68:69], v[62:63], v[66:67]
	v_pk_add_f32 v[62:63], v[62:63], v[66:67] neg_lo:[0,1] neg_hi:[0,1]
	v_pk_add_f32 v[54:55], v[46:47], v[0:1] neg_lo:[0,1] neg_hi:[0,1]
	v_pk_add_f32 v[0:1], v[46:47], v[0:1]
	v_mov_b32_e32 v46, v68
	v_mov_b32_e32 v47, v63
	;; [unrolled: 1-line block ×8, first 2 shown]
	ds_write2_b64 v50, v[46:47], v[58:59] offset0:32 offset1:48
	ds_write2_b64 v50, v[0:1], v[62:63] offset0:64 offset1:80
	v_pk_add_f32 v[0:1], v[48:49], v[24:25]
	v_pk_add_f32 v[46:47], v[52:53], v[28:29]
	v_mov_b32_e32 v60, v51
	v_mov_b32_e32 v56, v3
	;; [unrolled: 1-line block ×3, first 2 shown]
	v_pk_add_f32 v[24:25], v[48:49], v[24:25] neg_lo:[0,1] neg_hi:[0,1]
	v_pk_add_f32 v[2:3], v[60:61], v[56:57]
	v_pk_add_f32 v[48:49], v[4:5], v[26:27]
	ds_write_b64 v50, v[86:87] offset:768
	v_mov_b32_e32 v7, v46
	v_mov_b32_e32 v50, v71
	;; [unrolled: 1-line block ×7, first 2 shown]
	v_pk_add_f32 v[6:7], v[6:7], v[50:51]
	v_pk_add_f32 v[56:57], v[48:49], v[2:3]
	v_pk_add_f32 v[28:29], v[52:53], v[28:29] neg_lo:[0,1] neg_hi:[0,1]
	v_pk_add_f32 v[4:5], v[4:5], v[26:27] neg_lo:[0,1] neg_hi:[0,1]
	v_mov_b32_e32 v54, v6
	v_mov_b32_e32 v55, v0
	;; [unrolled: 1-line block ×3, first 2 shown]
	v_lshrrev_b32_e32 v1, 4, v12
	v_mov_b32_e32 v26, v24
	v_mov_b32_e32 v27, v29
	;; [unrolled: 1-line block ×4, first 2 shown]
	v_pk_add_f32 v[54:55], v[54:55], v[48:49] neg_lo:[0,1] neg_hi:[0,1]
	v_mov_b32_e32 v3, v57
	v_pk_add_f32 v[56:57], v[56:57], v[6:7]
	v_mov_b32_e32 v7, v46
	v_mul_lo_u32 v1, v1, s3
	v_pk_add_f32 v[26:27], v[26:27], v[4:5] neg_lo:[0,1] neg_hi:[0,1]
	v_pk_add_f32 v[50:51], v[50:51], v[28:29] neg_lo:[0,1] neg_hi:[0,1]
	v_pk_add_f32 v[6:7], v[2:3], v[6:7] neg_lo:[0,1] neg_hi:[0,1]
	v_pk_mul_f32 v[54:55], v[54:55], s[16:17]
	v_or_b32_e32 v1, v1, v45
	v_pk_mul_f32 v[50:51], v[50:51], s[18:19]
	v_pk_add_f32 v[52:53], v[28:29], v[4:5]
	v_pk_fma_f32 v[60:61], v[6:7], s[8:9], v[54:55]
	v_lshl_add_u32 v45, v1, 3, 0
	v_mov_b32_e32 v29, v5
	v_mov_b32_e32 v49, v46
	;; [unrolled: 1-line block ×3, first 2 shown]
	v_pk_mul_f32 v[0:1], v[26:27], s[6:7]
	v_pk_mul_f32 v[6:7], v[6:7], s[8:9]
	v_pk_add_f32 v[52:53], v[52:53], v[24:25]
	v_pk_add_f32 v[58:59], v[56:57], v[80:81]
	v_pk_fma_f32 v[62:63], v[26:27], s[6:7], v[50:51]
	v_pk_add_f32 v[4:5], v[28:29], v[24:25] neg_lo:[0,1] neg_hi:[0,1]
	v_pk_add_f32 v[2:3], v[48:49], v[2:3] neg_lo:[0,1] neg_hi:[0,1]
	v_mov_b32_e32 v24, v6
	v_mov_b32_e32 v25, v55
	;; [unrolled: 1-line block ×6, first 2 shown]
	v_pk_fma_f32 v[56:57], v[56:57], s[12:13], v[58:59] op_sel_hi:[1,0,1] neg_lo:[1,0,0] neg_hi:[1,0,0]
	v_pk_fma_f32 v[24:25], v[2:3], s[14:15], v[24:25] op_sel_hi:[1,0,1] neg_lo:[1,0,1] neg_hi:[1,0,1]
	v_pk_fma_f32 v[26:27], v[4:5], s[10:11], v[26:27] op_sel_hi:[1,0,1] neg_lo:[1,0,1] neg_hi:[1,0,1]
	v_pk_fma_f32 v[2:3], v[2:3], s[14:15], v[54:55] op_sel_hi:[1,0,1] neg_lo:[0,0,1] neg_hi:[0,0,1]
	v_pk_fma_f32 v[0:1], v[4:5], s[10:11], v[50:51] op_sel_hi:[1,0,1] neg_lo:[0,0,1] neg_hi:[0,0,1]
	v_pk_add_f32 v[24:25], v[24:25], v[56:57]
	v_pk_fma_f32 v[26:27], v[52:53], s[2:3], v[26:27] op_sel_hi:[1,0,1]
	v_pk_add_f32 v[2:3], v[2:3], v[56:57]
	v_pk_fma_f32 v[0:1], v[52:53], s[2:3], v[0:1] op_sel_hi:[1,0,1]
	v_pk_add_f32 v[28:29], v[24:25], v[26:27]
	v_pk_add_f32 v[24:25], v[24:25], v[26:27] neg_lo:[0,1] neg_hi:[0,1]
	v_pk_add_f32 v[4:5], v[2:3], v[0:1] neg_lo:[0,1] neg_hi:[0,1]
	v_pk_add_f32 v[0:1], v[2:3], v[0:1]
	v_pk_add_f32 v[60:61], v[60:61], v[56:57]
	v_pk_fma_f32 v[62:63], v[52:53], s[2:3], v[62:63] op_sel_hi:[1,0,1]
	v_mov_b32_e32 v7, v25
	v_mov_b32_e32 v3, v1
	;; [unrolled: 1-line block ×4, first 2 shown]
	v_pk_add_f32 v[64:65], v[60:61], v[62:63]
	v_pk_add_f32 v[60:61], v[60:61], v[62:63] neg_lo:[0,1] neg_hi:[0,1]
	ds_write2_b64 v45, v[0:1], v[24:25] offset0:64 offset1:80
	v_mul_i32_i24_e32 v24, 6, v12
	v_mov_b32_e32 v25, 0
	v_mov_b32_e32 v62, v64
	;; [unrolled: 1-line block ×6, first 2 shown]
	v_lshl_add_u64 v[26:27], v[24:25], 3, s[4:5]
	ds_write2_b64 v45, v[58:59], v[62:63] offset1:16
	ds_write2_b64 v45, v[6:7], v[2:3] offset0:32 offset1:48
	ds_write_b64 v45, v[60:61] offset:768
	s_waitcnt lgkmcnt(0)
	; wave barrier
	s_waitcnt lgkmcnt(0)
	global_load_dwordx4 v[0:3], v[26:27], off offset:912
	v_mul_u32_u24_e32 v4, 6, v8
	v_lshlrev_b32_e32 v24, 3, v4
	global_load_dwordx4 v[4:7], v24, s[4:5] offset:912
	global_load_dwordx4 v[46:49], v24, s[4:5] offset:880
	;; [unrolled: 1-line block ×3, first 2 shown]
	ds_read2_b64 v[54:57], v40 offset0:160 offset1:216
	global_load_dwordx4 v[58:61], v[26:27], off offset:896
	s_waitcnt vmcnt(4) lgkmcnt(0)
	v_pk_mul_f32 v[28:29], v[56:57], v[2:3] op_sel_hi:[1,0]
	v_mov_b32_e32 v2, v3
	v_mov_b32_e32 v24, v3
	v_pk_fma_f32 v[62:63], v[56:57], v[2:3], v[28:29] op_sel:[0,0,1] op_sel_hi:[1,1,0]
	v_pk_fma_f32 v[56:57], v[56:57], v[24:25], v[28:29] op_sel:[0,0,1] op_sel_hi:[1,0,0] neg_lo:[1,0,0] neg_hi:[1,0,0]
	global_load_dwordx4 v[26:29], v[26:27], off offset:880
	s_waitcnt vmcnt(4)
	v_pk_mul_f32 v[2:3], v[54:55], v[6:7] op_sel_hi:[1,0]
	v_mov_b32_e32 v6, v7
	v_pk_fma_f32 v[64:65], v[54:55], v[6:7], v[2:3] op_sel:[0,0,1] op_sel_hi:[1,1,0]
	v_pk_fma_f32 v[2:3], v[54:55], v[6:7], v[2:3] op_sel:[0,0,1] op_sel_hi:[1,0,0] neg_lo:[1,0,0] neg_hi:[1,0,0]
	ds_read_b64 v[6:7], v42
	ds_read_b64 v[54:55], v43
	;; [unrolled: 1-line block ×4, first 2 shown]
	s_waitcnt vmcnt(3)
	v_mov_b32_e32 v72, v49
	s_waitcnt lgkmcnt(3)
	v_mov_b32_e32 v2, v7
	v_pk_mul_f32 v[42:43], v[46:47], v[6:7] op_sel_hi:[1,0]
	s_waitcnt vmcnt(2)
	v_mov_b32_e32 v73, v53
	v_pk_fma_f32 v[70:71], v[46:47], v[2:3], v[42:43] op_sel:[0,0,1] op_sel_hi:[1,1,0]
	v_pk_fma_f32 v[6:7], v[46:47], v[6:7], v[42:43] op_sel:[0,1,1] op_sel_hi:[1,1,0] neg_lo:[1,0,0] neg_hi:[1,0,0]
	ds_read2_b64 v[42:45], v37 offset0:192 offset1:248
	s_waitcnt lgkmcnt(3)
	v_mov_b32_e32 v46, v54
	v_mul_f32_e32 v2, v49, v55
	v_mov_b32_e32 v74, v48
	v_mov_b32_e32 v75, v52
	s_waitcnt lgkmcnt(0)
	v_mov_b32_e32 v47, v43
	v_pk_mul_f32 v[46:47], v[72:73], v[46:47]
	v_mov_b32_e32 v72, v55
	v_mov_b32_e32 v73, v42
	v_fma_f32 v54, v48, v54, -v2
	v_pk_fma_f32 v[76:77], v[48:49], v[72:73], v[46:47]
	v_pk_fma_f32 v[72:73], v[74:75], v[72:73], v[46:47] neg_lo:[0,0,1] neg_hi:[0,0,1]
	ds_read2_b64 v[46:49], v40 offset0:48 offset1:104
	v_mov_b32_e32 v75, v67
	v_mul_f32_e32 v55, v50, v67
	v_mov_b32_e32 v81, v50
	v_mov_b32_e32 v50, v5
	s_waitcnt lgkmcnt(0)
	v_mov_b32_e32 v74, v46
	v_mov_b32_e32 v78, v47
	;; [unrolled: 1-line block ×4, first 2 shown]
	v_pk_mul_f32 v[74:75], v[50:51], v[74:75]
	v_mul_f32_e32 v2, v5, v47
	v_pk_fma_f32 v[80:81], v[80:81], v[78:79], v[74:75] neg_lo:[0,0,1] neg_hi:[0,0,1]
	v_pk_fma_f32 v[74:75], v[4:5], v[78:79], v[74:75]
	v_fma_f32 v4, v4, v46, -v2
	v_mul_f32_e32 v5, v51, v66
	v_mul_f32_e32 v43, v52, v43
	;; [unrolled: 1-line block ×3, first 2 shown]
	v_mov_b32_e32 v42, v7
	v_mov_b32_e32 v46, v3
	;; [unrolled: 1-line block ×4, first 2 shown]
	v_pk_add_f32 v[2:3], v[42:43], v[46:47]
	v_pk_add_f32 v[6:7], v[54:55], v[4:5]
	v_mov_b32_e32 v77, v73
	v_mov_b32_e32 v75, v81
	;; [unrolled: 1-line block ×6, first 2 shown]
	v_pk_add_f32 v[50:51], v[70:71], v[64:65]
	v_pk_add_f32 v[52:53], v[70:71], v[64:65] neg_lo:[0,1] neg_hi:[0,1]
	v_pk_add_f32 v[64:65], v[76:77], v[74:75]
	v_pk_add_f32 v[4:5], v[42:43], v[4:5] neg_lo:[0,1] neg_hi:[0,1]
	v_pk_add_f32 v[66:67], v[76:77], v[74:75] neg_lo:[0,1] neg_hi:[0,1]
	v_mov_b32_e32 v42, v81
	v_mov_b32_e32 v43, v64
	;; [unrolled: 1-line block ×6, first 2 shown]
	v_pk_add_f32 v[42:43], v[42:43], v[46:47]
	v_mov_b32_e32 v47, v67
	v_pk_add_f32 v[54:55], v[54:55], v[66:67] neg_lo:[0,1] neg_hi:[0,1]
	v_pk_add_f32 v[70:71], v[66:67], v[4:5]
	v_mov_b32_e32 v67, v5
	v_mov_b32_e32 v46, v52
	v_pk_add_f32 v[70:71], v[70:71], v[52:53]
	v_pk_add_f32 v[52:53], v[66:67], v[52:53] neg_lo:[0,1] neg_hi:[0,1]
	v_pk_add_f32 v[66:67], v[6:7], v[2:3]
	v_pk_add_f32 v[46:47], v[46:47], v[4:5] neg_lo:[0,1] neg_hi:[0,1]
	v_mov_b32_e32 v4, v42
	v_mov_b32_e32 v5, v50
	;; [unrolled: 1-line block ×4, first 2 shown]
	v_pk_add_f32 v[66:67], v[66:67], v[42:43]
	v_mov_b32_e32 v43, v64
	v_pk_add_f32 v[4:5], v[4:5], v[6:7] neg_lo:[0,1] neg_hi:[0,1]
	v_mov_b32_e32 v7, v64
	v_pk_add_f32 v[42:43], v[2:3], v[42:43] neg_lo:[0,1] neg_hi:[0,1]
	;; [unrolled: 2-line block ×3, first 2 shown]
	v_pk_mul_f32 v[50:51], v[54:55], s[18:19]
	v_pk_mul_f32 v[54:55], v[4:5], s[16:17]
	ds_read2_b64 v[2:5], v30 offset1:168
	v_pk_mul_f32 v[74:75], v[46:47], s[6:7]
	v_mov_b32_e32 v73, v55
	v_mov_b32_e32 v77, v51
	v_pk_fma_f32 v[46:47], v[46:47], s[6:7], v[50:51]
	s_waitcnt lgkmcnt(0)
	v_pk_add_f32 v[2:3], v[66:67], v[2:3]
	v_mov_b32_e32 v51, v75
	v_pk_fma_f32 v[64:65], v[66:67], s[12:13], v[2:3] op_sel_hi:[1,0,1] neg_lo:[1,0,0] neg_hi:[1,0,0]
	v_pk_mul_f32 v[66:67], v[42:43], s[8:9]
	v_pk_fma_f32 v[42:43], v[42:43], s[8:9], v[54:55]
	v_mov_b32_e32 v72, v66
	v_mov_b32_e32 v55, v67
	v_pk_fma_f32 v[72:73], v[6:7], s[14:15], v[72:73] op_sel_hi:[1,0,1] neg_lo:[1,0,1] neg_hi:[1,0,1]
	v_pk_fma_f32 v[6:7], v[6:7], s[14:15], v[54:55] op_sel_hi:[1,0,1] neg_lo:[0,0,1] neg_hi:[0,0,1]
	;; [unrolled: 1-line block ×3, first 2 shown]
	v_mov_b32_e32 v76, v74
	v_pk_add_f32 v[6:7], v[6:7], v[64:65]
	v_pk_fma_f32 v[50:51], v[70:71], s[2:3], v[50:51] op_sel_hi:[1,0,1]
	v_pk_fma_f32 v[76:77], v[52:53], s[10:11], v[76:77] op_sel_hi:[1,0,1] neg_lo:[1,0,1] neg_hi:[1,0,1]
	v_pk_add_f32 v[54:55], v[6:7], v[50:51] neg_lo:[0,1] neg_hi:[0,1]
	v_pk_add_f32 v[6:7], v[6:7], v[50:51]
	ds_read2_b64 v[50:53], v37 offset0:24 offset1:136
	v_pk_add_f32 v[72:73], v[72:73], v[64:65]
	v_pk_fma_f32 v[76:77], v[70:71], s[2:3], v[76:77] op_sel_hi:[1,0,1]
	v_mov_b32_e32 v74, v54
	v_pk_add_f32 v[78:79], v[72:73], v[76:77]
	v_pk_add_f32 v[72:73], v[72:73], v[76:77] neg_lo:[0,1] neg_hi:[0,1]
	v_mov_b32_e32 v66, v78
	v_mov_b32_e32 v67, v73
	;; [unrolled: 1-line block ×3, first 2 shown]
	s_waitcnt lgkmcnt(0)
	; wave barrier
	s_waitcnt lgkmcnt(0)
	ds_write2_b64 v38, v[66:67], v[74:75] offset0:96 offset1:208
	s_waitcnt vmcnt(0)
	v_pk_mul_f32 v[66:67], v[4:5], v[26:27] op_sel_hi:[1,0]
	v_mov_b32_e32 v24, v27
	v_pk_fma_f32 v[74:75], v[4:5], v[24:25], v[66:67] op_sel:[0,0,1] op_sel_hi:[1,1,0]
	v_pk_fma_f32 v[4:5], v[4:5], v[26:27], v[66:67] op_sel:[0,1,1] op_sel_hi:[1,1,0] neg_lo:[1,0,0] neg_hi:[1,0,0]
	v_pk_mul_f32 v[26:27], v[50:51], v[28:29]
	v_mov_b32_e32 v66, v51
	v_mov_b32_e32 v4, v27
	v_pk_fma_f32 v[26:27], v[50:51], v[28:29], v[4:5] neg_lo:[0,0,1] neg_hi:[0,0,1]
	v_mov_b32_e32 v77, v60
	v_mov_b32_e32 v51, v45
	v_mul_f32_e32 v45, v45, v60
	v_mov_b32_e32 v60, v29
	v_mov_b32_e32 v67, v44
	;; [unrolled: 1-line block ×3, first 2 shown]
	v_pk_mul_f32 v[50:51], v[50:51], v[60:61]
	v_mul_f32_e32 v27, v53, v58
	v_pk_fma_f32 v[28:29], v[66:67], v[28:29], v[50:51]
	v_pk_fma_f32 v[50:51], v[66:67], v[76:77], v[50:51] neg_lo:[0,0,1] neg_hi:[0,0,1]
	v_pk_mul_f32 v[66:67], v[48:49], v[0:1]
	v_mov_b32_e32 v76, v49
	v_mov_b32_e32 v4, v67
	v_pk_fma_f32 v[66:67], v[48:49], v[0:1], v[4:5] neg_lo:[0,0,1] neg_hi:[0,0,1]
	v_mov_b32_e32 v49, v53
	v_mov_b32_e32 v53, v58
	;; [unrolled: 1-line block ×3, first 2 shown]
	v_pk_mul_f32 v[48:49], v[48:49], v[58:59]
	v_mul_f32_e32 v67, v52, v59
	v_mov_b32_e32 v77, v52
	v_mov_b32_e32 v52, v0
	v_pk_fma_f32 v[0:1], v[76:77], v[0:1], v[48:49]
	v_pk_fma_f32 v[48:49], v[76:77], v[52:53], v[48:49] neg_lo:[0,0,1] neg_hi:[0,0,1]
	v_pk_add_f32 v[42:43], v[42:43], v[64:65]
	v_pk_fma_f32 v[46:47], v[70:71], s[2:3], v[46:47] op_sel_hi:[1,0,1]
	v_mul_f32_e32 v61, v44, v61
	v_pk_add_f32 v[52:53], v[42:43], v[46:47]
	v_pk_add_f32 v[42:43], v[42:43], v[46:47] neg_lo:[0,1] neg_hi:[0,1]
	v_mov_b32_e32 v29, v51
	v_mov_b32_e32 v1, v49
	;; [unrolled: 1-line block ×8, first 2 shown]
	v_pk_add_f32 v[58:59], v[28:29], v[0:1]
	v_pk_add_f32 v[0:1], v[28:29], v[0:1] neg_lo:[0,1] neg_hi:[0,1]
	v_pk_add_f32 v[4:5], v[44:45], v[60:61]
	v_pk_add_f32 v[28:29], v[26:27], v[66:67]
	ds_write2_b64 v30, v[2:3], v[46:47] offset1:112
	v_pk_add_f32 v[2:3], v[74:75], v[62:63]
	v_mov_b32_e32 v27, v26
	v_mov_b32_e32 v26, v5
	;; [unrolled: 1-line block ×4, first 2 shown]
	v_pk_add_f32 v[46:47], v[74:75], v[62:63] neg_lo:[0,1] neg_hi:[0,1]
	v_pk_add_f32 v[26:27], v[26:27], v[44:45] neg_lo:[0,1] neg_hi:[0,1]
	v_mov_b32_e32 v7, v55
	v_mov_b32_e32 v73, v79
	;; [unrolled: 1-line block ×7, first 2 shown]
	ds_write2_b64 v41, v[6:7], v[72:73] offset0:64 offset1:176
	v_mov_b32_e32 v40, v26
	v_mov_b32_e32 v41, v47
	ds_write_b64 v30, v[42:43] offset:5376
	v_pk_add_f32 v[42:43], v[28:29], v[4:5]
	v_pk_add_f32 v[48:49], v[48:49], v[50:51]
	v_mov_b32_e32 v6, v46
	v_mov_b32_e32 v7, v1
	v_pk_add_f32 v[40:41], v[40:41], v[0:1] neg_lo:[0,1] neg_hi:[0,1]
	v_mov_b32_e32 v50, v48
	v_mov_b32_e32 v29, v43
	;; [unrolled: 1-line block ×3, first 2 shown]
	v_pk_add_f32 v[42:43], v[42:43], v[48:49]
	v_mov_b32_e32 v49, v58
	v_pk_add_f32 v[6:7], v[6:7], v[26:27] neg_lo:[0,1] neg_hi:[0,1]
	v_pk_mul_f32 v[40:41], v[40:41], s[18:19]
	v_pk_add_f32 v[50:51], v[50:51], v[28:29] neg_lo:[0,1] neg_hi:[0,1]
	v_pk_add_f32 v[48:49], v[4:5], v[48:49] neg_lo:[0,1] neg_hi:[0,1]
	v_pk_add_f32 v[44:45], v[0:1], v[26:27]
	v_pk_mul_f32 v[50:51], v[50:51], s[16:17]
	v_pk_fma_f32 v[56:57], v[6:7], s[6:7], v[40:41]
	v_mov_b32_e32 v1, v27
	v_pk_mul_f32 v[6:7], v[6:7], s[6:7]
	v_pk_mul_f32 v[26:27], v[48:49], s[8:9]
	v_mov_b32_e32 v29, v58
	v_mov_b32_e32 v5, v2
	v_pk_add_f32 v[52:53], v[42:43], v[68:69]
	v_pk_fma_f32 v[54:55], v[48:49], s[8:9], v[50:51]
	v_pk_add_f32 v[0:1], v[0:1], v[46:47] neg_lo:[0,1] neg_hi:[0,1]
	v_pk_add_f32 v[2:3], v[28:29], v[4:5] neg_lo:[0,1] neg_hi:[0,1]
	v_mov_b32_e32 v4, v26
	v_mov_b32_e32 v5, v51
	v_mov_b32_e32 v28, v6
	v_mov_b32_e32 v29, v41
	v_mov_b32_e32 v51, v27
	v_mov_b32_e32 v41, v7
	v_pk_add_f32 v[44:45], v[44:45], v[46:47]
	v_pk_fma_f32 v[42:43], v[42:43], s[12:13], v[52:53] op_sel_hi:[1,0,1] neg_lo:[1,0,0] neg_hi:[1,0,0]
	v_pk_fma_f32 v[4:5], v[2:3], s[14:15], v[4:5] op_sel_hi:[1,0,1] neg_lo:[1,0,1] neg_hi:[1,0,1]
	;; [unrolled: 1-line block ×5, first 2 shown]
	v_pk_add_f32 v[4:5], v[4:5], v[42:43]
	v_pk_fma_f32 v[28:29], v[44:45], s[2:3], v[28:29] op_sel_hi:[1,0,1]
	v_pk_add_f32 v[2:3], v[2:3], v[42:43]
	v_pk_fma_f32 v[0:1], v[44:45], s[2:3], v[0:1] op_sel_hi:[1,0,1]
	;; [unrolled: 2-line block ×3, first 2 shown]
	v_pk_add_f32 v[46:47], v[4:5], v[28:29]
	v_pk_add_f32 v[4:5], v[4:5], v[28:29] neg_lo:[0,1] neg_hi:[0,1]
	v_pk_add_f32 v[6:7], v[2:3], v[0:1] neg_lo:[0,1] neg_hi:[0,1]
	v_pk_add_f32 v[0:1], v[2:3], v[0:1]
	v_pk_add_f32 v[60:61], v[54:55], v[56:57]
	v_pk_add_f32 v[54:55], v[54:55], v[56:57] neg_lo:[0,1] neg_hi:[0,1]
	v_mov_b32_e32 v28, v46
	v_mov_b32_e32 v29, v5
	;; [unrolled: 1-line block ×4, first 2 shown]
	v_add_u32_e32 v1, 0x400, v39
	v_mov_b32_e32 v56, v60
	v_mov_b32_e32 v57, v55
	ds_write2_b64 v1, v[28:29], v[2:3] offset0:96 offset1:208
	v_mov_b32_e32 v1, v7
	v_mov_b32_e32 v5, v47
	v_add_u32_e32 v2, 0xc00, v39
	v_mov_b32_e32 v55, v61
	ds_write2_b64 v39, v[52:53], v[56:57] offset1:112
	ds_write2_b64 v2, v[0:1], v[4:5] offset0:64 offset1:176
	ds_write_b64 v39, v[54:55] offset:5376
	s_waitcnt lgkmcnt(0)
	; wave barrier
	s_waitcnt lgkmcnt(0)
	ds_read_b64 v[4:5], v30
	s_add_u32 s2, s4, 0x1870
	s_addc_u32 s3, s5, 0
	v_sub_u32_e32 v6, 0, v9
                                        ; implicit-def: $vgpr3
                                        ; implicit-def: $vgpr0_vgpr1
	s_and_saveexec_b64 s[4:5], vcc
	s_xor_b64 s[4:5], exec, s[4:5]
	s_cbranch_execz .LBB0_15
; %bb.14:
	v_mov_b32_e32 v9, v25
	v_lshl_add_u64 v[0:1], v[8:9], 3, s[2:3]
	global_load_dwordx2 v[0:1], v[0:1], off
	ds_read_b64 v[2:3], v6 offset:6272
	v_mov_b32_e32 v25, 0.5
	v_mov_b32_e32 v26, v25
	s_waitcnt lgkmcnt(0)
	v_pk_add_f32 v[28:29], v[2:3], v[4:5]
	v_pk_add_f32 v[2:3], v[4:5], v[2:3] neg_lo:[0,1] neg_hi:[0,1]
	v_mov_b32_e32 v4, v29
	v_mov_b32_e32 v5, v2
	v_pk_mul_f32 v[4:5], v[4:5], 0.5 op_sel_hi:[1,0]
	s_waitcnt vmcnt(0)
	v_mov_b32_e32 v24, v1
	v_mov_b32_e32 v2, v5
	;; [unrolled: 1-line block ×4, first 2 shown]
	v_pk_mul_f32 v[2:3], v[24:25], v[2:3]
	v_pk_mul_f32 v[38:39], v[0:1], v[4:5] op_sel_hi:[0,1]
	v_pk_fma_f32 v[24:25], v[28:29], v[26:27], v[2:3]
	v_pk_fma_f32 v[26:27], v[28:29], v[26:27], v[2:3] neg_lo:[0,0,1] neg_hi:[0,0,1]
	v_pk_fma_f32 v[2:3], v[0:1], v[4:5], v[24:25] op_sel_hi:[0,1,1] neg_lo:[1,0,0] neg_hi:[1,0,0]
	v_pk_fma_f32 v[0:1], v[0:1], v[4:5], v[26:27] op_sel_hi:[0,1,1] neg_lo:[1,0,0] neg_hi:[1,0,0]
	v_add_f32_e32 v2, v24, v38
                                        ; implicit-def: $vgpr4_vgpr5
.LBB0_15:
	s_or_saveexec_b64 s[4:5], s[4:5]
	v_sub_u32_e32 v27, 0, v19
	v_sub_u32_e32 v25, 0, v21
	;; [unrolled: 1-line block ×6, first 2 shown]
	s_xor_b64 exec, exec, s[4:5]
	s_cbranch_execz .LBB0_17
; %bb.16:
	s_waitcnt lgkmcnt(0)
	v_mov_b32_e32 v0, v5
	v_pk_add_f32 v[0:1], v[4:5], v[0:1] neg_lo:[0,1] neg_hi:[0,1]
	v_add_f32_e32 v2, v5, v4
	v_mov_b32_e32 v1, 0
	ds_read_b32 v3, v1 offset:3140
	s_waitcnt lgkmcnt(0)
	v_xor_b32_e32 v3, 0x80000000, v3
	ds_write_b32 v1, v3 offset:3140
	v_mov_b32_e32 v3, v1
.LBB0_17:
	s_or_b64 exec, exec, s[4:5]
	v_mov_b32_e32 v13, 0
	s_waitcnt lgkmcnt(0)
	v_lshl_add_u64 v[4:5], v[12:13], 3, s[2:3]
	global_load_dwordx2 v[4:5], v[4:5], off
	v_mov_b32_e32 v23, v13
	v_lshl_add_u64 v[22:23], v[22:23], 3, s[2:3]
	global_load_dwordx2 v[22:23], v[22:23], off
	v_mov_b32_e32 v21, v13
	;; [unrolled: 3-line block ×3, first 2 shown]
	ds_write_b64 v30, v[2:3]
	v_lshl_add_u64 v[2:3], v[18:19], 3, s[2:3]
	global_load_dwordx2 v[2:3], v[2:3], off
	v_add_u32_e32 v25, v17, v25
	v_mov_b32_e32 v17, v13
	ds_write_b64 v6, v[0:1] offset:6272
	v_add_u32_e32 v12, v15, v27
	v_lshl_add_u64 v[16:17], v[16:17], 3, s[2:3]
	v_add_u32_e32 v38, v34, v26
	ds_read_b64 v[18:19], v12
	ds_read_b64 v[26:27], v6 offset:5824
	global_load_dwordx2 v[16:17], v[16:17], off
	v_mov_b32_e32 v1, 0.5
	v_mov_b32_e32 v28, v1
	v_mov_b32_e32 v15, v13
	s_waitcnt lgkmcnt(0)
	v_pk_add_f32 v[36:37], v[18:19], v[26:27]
	v_pk_add_f32 v[18:19], v[18:19], v[26:27] neg_lo:[0,1] neg_hi:[0,1]
	v_mov_b32_e32 v26, v37
	v_mov_b32_e32 v27, v18
	v_pk_mul_f32 v[26:27], v[26:27], 0.5 op_sel_hi:[1,0]
	v_lshl_add_u64 v[14:15], v[14:15], 3, s[2:3]
	v_mov_b32_e32 v37, v26
	v_mov_b32_e32 v18, v27
	;; [unrolled: 1-line block ×3, first 2 shown]
	v_add_u32_e32 v9, v32, v9
	v_add_u32_e32 v7, v31, v7
	s_waitcnt vmcnt(4)
	v_mov_b32_e32 v29, v5
	v_mov_b32_e32 v0, v5
	v_pk_mul_f32 v[28:29], v[36:37], v[28:29]
	s_waitcnt vmcnt(3)
	v_mov_b32_e32 v35, v23
	v_pk_fma_f32 v[36:37], v[0:1], v[18:19], v[28:29] neg_lo:[1,0,0] neg_hi:[1,0,0]
	v_pk_fma_f32 v[18:19], v[0:1], v[18:19], v[28:29]
	v_pk_fma_f32 v[28:29], v[4:5], v[26:27], v[36:37] op_sel_hi:[0,1,1] neg_lo:[1,0,0] neg_hi:[1,0,0]
	v_pk_fma_f32 v[36:37], v[4:5], v[26:27], v[18:19] op_sel_hi:[0,1,1]
	v_pk_fma_f32 v[4:5], v[4:5], v[26:27], v[18:19] op_sel_hi:[0,1,1] neg_lo:[1,0,0] neg_hi:[1,0,0]
	v_mov_b32_e32 v37, v5
	ds_write_b64 v12, v[36:37]
	ds_write_b64 v6, v[28:29] offset:5824
	ds_read_b64 v[4:5], v25
	ds_read_b64 v[18:19], v6 offset:5376
	global_load_dwordx2 v[14:15], v[14:15], off
	v_mov_b32_e32 v0, v23
	v_add_u32_e32 v12, v33, v24
	s_waitcnt lgkmcnt(0)
	v_pk_add_f32 v[26:27], v[4:5], v[18:19]
	v_pk_add_f32 v[4:5], v[4:5], v[18:19] neg_lo:[0,1] neg_hi:[0,1]
	v_mov_b32_e32 v18, v27
	v_mov_b32_e32 v19, v4
	v_pk_mul_f32 v[18:19], v[18:19], 0.5 op_sel_hi:[1,0]
	s_nop 0
	v_mov_b32_e32 v27, v18
	v_mov_b32_e32 v4, v19
	v_pk_mul_f32 v[26:27], v[26:27], v[34:35]
	s_nop 0
	v_pk_fma_f32 v[28:29], v[0:1], v[4:5], v[26:27] neg_lo:[1,0,0] neg_hi:[1,0,0]
	v_pk_fma_f32 v[4:5], v[0:1], v[4:5], v[26:27]
	v_pk_fma_f32 v[26:27], v[22:23], v[18:19], v[28:29] op_sel_hi:[0,1,1] neg_lo:[1,0,0] neg_hi:[1,0,0]
	v_pk_fma_f32 v[28:29], v[22:23], v[18:19], v[4:5] op_sel_hi:[0,1,1]
	v_pk_fma_f32 v[4:5], v[22:23], v[18:19], v[4:5] op_sel_hi:[0,1,1] neg_lo:[1,0,0] neg_hi:[1,0,0]
	v_mov_b32_e32 v29, v5
	ds_write_b64 v25, v[28:29]
	ds_write_b64 v6, v[26:27] offset:5376
	ds_read_b64 v[4:5], v38
	ds_read_b64 v[18:19], v6 offset:4928
	v_mov_b32_e32 v22, v1
	s_waitcnt vmcnt(3)
	v_mov_b32_e32 v23, v21
	v_mov_b32_e32 v0, v21
	s_waitcnt lgkmcnt(0)
	v_pk_add_f32 v[24:25], v[4:5], v[18:19]
	v_pk_add_f32 v[4:5], v[4:5], v[18:19] neg_lo:[0,1] neg_hi:[0,1]
	v_mov_b32_e32 v18, v25
	v_mov_b32_e32 v19, v4
	v_pk_mul_f32 v[18:19], v[18:19], 0.5 op_sel_hi:[1,0]
	s_nop 0
	v_mov_b32_e32 v25, v18
	v_mov_b32_e32 v4, v19
	v_pk_mul_f32 v[22:23], v[24:25], v[22:23]
	s_nop 0
	v_pk_fma_f32 v[24:25], v[0:1], v[4:5], v[22:23] neg_lo:[1,0,0] neg_hi:[1,0,0]
	v_pk_fma_f32 v[4:5], v[0:1], v[4:5], v[22:23]
	v_pk_fma_f32 v[22:23], v[20:21], v[18:19], v[24:25] op_sel_hi:[0,1,1] neg_lo:[1,0,0] neg_hi:[1,0,0]
	v_pk_fma_f32 v[24:25], v[20:21], v[18:19], v[4:5] op_sel_hi:[0,1,1]
	v_pk_fma_f32 v[4:5], v[20:21], v[18:19], v[4:5] op_sel_hi:[0,1,1] neg_lo:[1,0,0] neg_hi:[1,0,0]
	v_mov_b32_e32 v25, v5
	ds_write_b64 v38, v[24:25]
	ds_write_b64 v6, v[22:23] offset:4928
	ds_read_b64 v[4:5], v12
	ds_read_b64 v[18:19], v6 offset:4480
	v_mov_b32_e32 v20, v1
	s_waitcnt vmcnt(2)
	v_mov_b32_e32 v21, v3
	v_mov_b32_e32 v0, v3
	;; [unrolled: 25-line block ×4, first 2 shown]
	s_waitcnt lgkmcnt(0)
	v_pk_add_f32 v[18:19], v[2:3], v[4:5]
	v_pk_add_f32 v[2:3], v[2:3], v[4:5] neg_lo:[0,1] neg_hi:[0,1]
	v_mov_b32_e32 v4, v19
	v_mov_b32_e32 v5, v2
	v_pk_mul_f32 v[4:5], v[4:5], 0.5 op_sel_hi:[1,0]
	s_nop 0
	v_mov_b32_e32 v19, v4
	v_mov_b32_e32 v2, v5
	v_pk_mul_f32 v[16:17], v[18:19], v[16:17]
	s_nop 0
	v_pk_fma_f32 v[18:19], v[0:1], v[2:3], v[16:17] neg_lo:[1,0,0] neg_hi:[1,0,0]
	v_pk_fma_f32 v[0:1], v[0:1], v[2:3], v[16:17]
	v_pk_fma_f32 v[2:3], v[14:15], v[4:5], v[18:19] op_sel_hi:[0,1,1] neg_lo:[1,0,0] neg_hi:[1,0,0]
	v_pk_fma_f32 v[16:17], v[14:15], v[4:5], v[0:1] op_sel_hi:[0,1,1]
	v_pk_fma_f32 v[0:1], v[14:15], v[4:5], v[0:1] op_sel_hi:[0,1,1] neg_lo:[1,0,0] neg_hi:[1,0,0]
	v_mov_b32_e32 v17, v1
	ds_write_b64 v7, v[16:17]
	ds_write_b64 v6, v[2:3] offset:3584
	s_waitcnt lgkmcnt(0)
	; wave barrier
	s_waitcnt lgkmcnt(0)
	s_and_saveexec_b64 s[2:3], s[0:1]
	s_cbranch_execz .LBB0_20
; %bb.18:
	ds_read2_b64 v[0:3], v30 offset1:56
	ds_read2_b64 v[4:7], v30 offset0:112 offset1:168
	v_mov_b32_e32 v9, v13
	v_lshl_add_u64 v[16:17], v[8:9], 3, v[10:11]
	s_waitcnt lgkmcnt(1)
	global_store_dwordx2 v[16:17], v[0:1], off
	global_store_dwordx2 v[16:17], v[2:3], off offset:448
	s_waitcnt lgkmcnt(0)
	global_store_dwordx2 v[16:17], v[4:5], off offset:896
	v_add_u32_e32 v0, 0x400, v30
	ds_read2_b64 v[0:3], v0 offset0:96 offset1:152
	v_add_u32_e32 v4, 0x800, v30
	ds_read2_b64 v[12:15], v4 offset0:80 offset1:136
	global_store_dwordx2 v[16:17], v[6:7], off offset:1344
	ds_read2_b64 v[4:7], v4 offset0:192 offset1:248
	s_waitcnt lgkmcnt(2)
	global_store_dwordx2 v[16:17], v[0:1], off offset:1792
	global_store_dwordx2 v[16:17], v[2:3], off offset:2240
	s_waitcnt lgkmcnt(1)
	global_store_dwordx2 v[16:17], v[12:13], off offset:2688
	global_store_dwordx2 v[16:17], v[14:15], off offset:3136
	;; [unrolled: 3-line block ×3, first 2 shown]
	v_add_u32_e32 v4, 0x1000, v30
	ds_read2_b64 v[0:3], v4 offset0:48 offset1:104
	v_add_co_u32_e32 v12, vcc, 0x1000, v16
	ds_read2_b64 v[4:7], v4 offset0:160 offset1:216
	s_nop 0
	v_addc_co_u32_e32 v13, vcc, 0, v17, vcc
	v_cmp_eq_u32_e32 vcc, 55, v8
	s_waitcnt lgkmcnt(1)
	global_store_dwordx2 v[12:13], v[0:1], off offset:384
	global_store_dwordx2 v[12:13], v[2:3], off offset:832
	s_waitcnt lgkmcnt(0)
	global_store_dwordx2 v[12:13], v[4:5], off offset:1280
	global_store_dwordx2 v[12:13], v[6:7], off offset:1728
	s_and_b64 exec, exec, vcc
	s_cbranch_execz .LBB0_20
; %bb.19:
	v_mov_b32_e32 v0, 0
	ds_read_b64 v[0:1], v0 offset:6272
	v_add_co_u32_e32 v2, vcc, 0x1000, v10
	s_nop 1
	v_addc_co_u32_e32 v3, vcc, 0, v11, vcc
	s_waitcnt lgkmcnt(0)
	global_store_dwordx2 v[2:3], v[0:1], off offset:2176
.LBB0_20:
	s_endpgm
	.section	.rodata,"a",@progbits
	.p2align	6, 0x0
	.amdhsa_kernel fft_rtc_fwd_len784_factors_2_2_2_2_7_7_wgs_56_tpt_56_halfLds_sp_ip_CI_unitstride_sbrr_R2C_dirReg
		.amdhsa_group_segment_fixed_size 0
		.amdhsa_private_segment_fixed_size 0
		.amdhsa_kernarg_size 88
		.amdhsa_user_sgpr_count 2
		.amdhsa_user_sgpr_dispatch_ptr 0
		.amdhsa_user_sgpr_queue_ptr 0
		.amdhsa_user_sgpr_kernarg_segment_ptr 1
		.amdhsa_user_sgpr_dispatch_id 0
		.amdhsa_user_sgpr_kernarg_preload_length 0
		.amdhsa_user_sgpr_kernarg_preload_offset 0
		.amdhsa_user_sgpr_private_segment_size 0
		.amdhsa_uses_dynamic_stack 0
		.amdhsa_enable_private_segment 0
		.amdhsa_system_sgpr_workgroup_id_x 1
		.amdhsa_system_sgpr_workgroup_id_y 0
		.amdhsa_system_sgpr_workgroup_id_z 0
		.amdhsa_system_sgpr_workgroup_info 0
		.amdhsa_system_vgpr_workitem_id 0
		.amdhsa_next_free_vgpr 93
		.amdhsa_next_free_sgpr 22
		.amdhsa_accum_offset 96
		.amdhsa_reserve_vcc 1
		.amdhsa_float_round_mode_32 0
		.amdhsa_float_round_mode_16_64 0
		.amdhsa_float_denorm_mode_32 3
		.amdhsa_float_denorm_mode_16_64 3
		.amdhsa_dx10_clamp 1
		.amdhsa_ieee_mode 1
		.amdhsa_fp16_overflow 0
		.amdhsa_tg_split 0
		.amdhsa_exception_fp_ieee_invalid_op 0
		.amdhsa_exception_fp_denorm_src 0
		.amdhsa_exception_fp_ieee_div_zero 0
		.amdhsa_exception_fp_ieee_overflow 0
		.amdhsa_exception_fp_ieee_underflow 0
		.amdhsa_exception_fp_ieee_inexact 0
		.amdhsa_exception_int_div_zero 0
	.end_amdhsa_kernel
	.text
.Lfunc_end0:
	.size	fft_rtc_fwd_len784_factors_2_2_2_2_7_7_wgs_56_tpt_56_halfLds_sp_ip_CI_unitstride_sbrr_R2C_dirReg, .Lfunc_end0-fft_rtc_fwd_len784_factors_2_2_2_2_7_7_wgs_56_tpt_56_halfLds_sp_ip_CI_unitstride_sbrr_R2C_dirReg
                                        ; -- End function
	.section	.AMDGPU.csdata,"",@progbits
; Kernel info:
; codeLenInByte = 9116
; NumSgprs: 28
; NumVgprs: 93
; NumAgprs: 0
; TotalNumVgprs: 93
; ScratchSize: 0
; MemoryBound: 0
; FloatMode: 240
; IeeeMode: 1
; LDSByteSize: 0 bytes/workgroup (compile time only)
; SGPRBlocks: 3
; VGPRBlocks: 11
; NumSGPRsForWavesPerEU: 28
; NumVGPRsForWavesPerEU: 93
; AccumOffset: 96
; Occupancy: 5
; WaveLimiterHint : 1
; COMPUTE_PGM_RSRC2:SCRATCH_EN: 0
; COMPUTE_PGM_RSRC2:USER_SGPR: 2
; COMPUTE_PGM_RSRC2:TRAP_HANDLER: 0
; COMPUTE_PGM_RSRC2:TGID_X_EN: 1
; COMPUTE_PGM_RSRC2:TGID_Y_EN: 0
; COMPUTE_PGM_RSRC2:TGID_Z_EN: 0
; COMPUTE_PGM_RSRC2:TIDIG_COMP_CNT: 0
; COMPUTE_PGM_RSRC3_GFX90A:ACCUM_OFFSET: 23
; COMPUTE_PGM_RSRC3_GFX90A:TG_SPLIT: 0
	.text
	.p2alignl 6, 3212836864
	.fill 256, 4, 3212836864
	.type	__hip_cuid_12fa3c8471711e2e,@object ; @__hip_cuid_12fa3c8471711e2e
	.section	.bss,"aw",@nobits
	.globl	__hip_cuid_12fa3c8471711e2e
__hip_cuid_12fa3c8471711e2e:
	.byte	0                               ; 0x0
	.size	__hip_cuid_12fa3c8471711e2e, 1

	.ident	"AMD clang version 19.0.0git (https://github.com/RadeonOpenCompute/llvm-project roc-6.4.0 25133 c7fe45cf4b819c5991fe208aaa96edf142730f1d)"
	.section	".note.GNU-stack","",@progbits
	.addrsig
	.addrsig_sym __hip_cuid_12fa3c8471711e2e
	.amdgpu_metadata
---
amdhsa.kernels:
  - .agpr_count:     0
    .args:
      - .actual_access:  read_only
        .address_space:  global
        .offset:         0
        .size:           8
        .value_kind:     global_buffer
      - .offset:         8
        .size:           8
        .value_kind:     by_value
      - .actual_access:  read_only
        .address_space:  global
        .offset:         16
        .size:           8
        .value_kind:     global_buffer
      - .actual_access:  read_only
        .address_space:  global
        .offset:         24
        .size:           8
        .value_kind:     global_buffer
      - .offset:         32
        .size:           8
        .value_kind:     by_value
      - .actual_access:  read_only
        .address_space:  global
        .offset:         40
        .size:           8
        .value_kind:     global_buffer
      - .actual_access:  read_only
        .address_space:  global
        .offset:         48
        .size:           8
        .value_kind:     global_buffer
      - .offset:         56
        .size:           4
        .value_kind:     by_value
      - .actual_access:  read_only
        .address_space:  global
        .offset:         64
        .size:           8
        .value_kind:     global_buffer
      - .actual_access:  read_only
        .address_space:  global
        .offset:         72
        .size:           8
        .value_kind:     global_buffer
      - .address_space:  global
        .offset:         80
        .size:           8
        .value_kind:     global_buffer
    .group_segment_fixed_size: 0
    .kernarg_segment_align: 8
    .kernarg_segment_size: 88
    .language:       OpenCL C
    .language_version:
      - 2
      - 0
    .max_flat_workgroup_size: 56
    .name:           fft_rtc_fwd_len784_factors_2_2_2_2_7_7_wgs_56_tpt_56_halfLds_sp_ip_CI_unitstride_sbrr_R2C_dirReg
    .private_segment_fixed_size: 0
    .sgpr_count:     28
    .sgpr_spill_count: 0
    .symbol:         fft_rtc_fwd_len784_factors_2_2_2_2_7_7_wgs_56_tpt_56_halfLds_sp_ip_CI_unitstride_sbrr_R2C_dirReg.kd
    .uniform_work_group_size: 1
    .uses_dynamic_stack: false
    .vgpr_count:     93
    .vgpr_spill_count: 0
    .wavefront_size: 64
amdhsa.target:   amdgcn-amd-amdhsa--gfx950
amdhsa.version:
  - 1
  - 2
...

	.end_amdgpu_metadata
